;; amdgpu-corpus repo=ROCm/rocFFT kind=compiled arch=gfx906 opt=O3
	.text
	.amdgcn_target "amdgcn-amd-amdhsa--gfx906"
	.amdhsa_code_object_version 6
	.protected	fft_rtc_fwd_len338_factors_13_2_13_wgs_52_tpt_26_halfLds_dp_ip_CI_unitstride_sbrr_C2R_dirReg ; -- Begin function fft_rtc_fwd_len338_factors_13_2_13_wgs_52_tpt_26_halfLds_dp_ip_CI_unitstride_sbrr_C2R_dirReg
	.globl	fft_rtc_fwd_len338_factors_13_2_13_wgs_52_tpt_26_halfLds_dp_ip_CI_unitstride_sbrr_C2R_dirReg
	.p2align	8
	.type	fft_rtc_fwd_len338_factors_13_2_13_wgs_52_tpt_26_halfLds_dp_ip_CI_unitstride_sbrr_C2R_dirReg,@function
fft_rtc_fwd_len338_factors_13_2_13_wgs_52_tpt_26_halfLds_dp_ip_CI_unitstride_sbrr_C2R_dirReg: ; @fft_rtc_fwd_len338_factors_13_2_13_wgs_52_tpt_26_halfLds_dp_ip_CI_unitstride_sbrr_C2R_dirReg
; %bb.0:
	s_load_dwordx2 s[12:13], s[4:5], 0x50
	s_load_dwordx4 s[8:11], s[4:5], 0x0
	s_load_dwordx2 s[2:3], s[4:5], 0x18
	v_mul_u32_u24_e32 v1, 0x9d9, v0
	v_lshrrev_b32_e32 v9, 16, v1
	v_mov_b32_e32 v3, 0
	s_waitcnt lgkmcnt(0)
	v_cmp_lt_u64_e64 s[0:1], s[10:11], 2
	v_mov_b32_e32 v1, 0
	v_lshl_add_u32 v5, s6, 1, v9
	v_mov_b32_e32 v6, v3
	s_and_b64 vcc, exec, s[0:1]
	v_mov_b32_e32 v2, 0
	s_cbranch_vccnz .LBB0_8
; %bb.1:
	s_load_dwordx2 s[0:1], s[4:5], 0x10
	s_add_u32 s6, s2, 8
	s_addc_u32 s7, s3, 0
	v_mov_b32_e32 v1, 0
	v_mov_b32_e32 v2, 0
	s_waitcnt lgkmcnt(0)
	s_add_u32 s14, s0, 8
	s_addc_u32 s15, s1, 0
	s_mov_b64 s[16:17], 1
.LBB0_2:                                ; =>This Inner Loop Header: Depth=1
	s_load_dwordx2 s[18:19], s[14:15], 0x0
                                        ; implicit-def: $vgpr7_vgpr8
	s_waitcnt lgkmcnt(0)
	v_or_b32_e32 v4, s19, v6
	v_cmp_ne_u64_e32 vcc, 0, v[3:4]
	s_and_saveexec_b64 s[0:1], vcc
	s_xor_b64 s[20:21], exec, s[0:1]
	s_cbranch_execz .LBB0_4
; %bb.3:                                ;   in Loop: Header=BB0_2 Depth=1
	v_cvt_f32_u32_e32 v4, s18
	v_cvt_f32_u32_e32 v7, s19
	s_sub_u32 s0, 0, s18
	s_subb_u32 s1, 0, s19
	v_mac_f32_e32 v4, 0x4f800000, v7
	v_rcp_f32_e32 v4, v4
	v_mul_f32_e32 v4, 0x5f7ffffc, v4
	v_mul_f32_e32 v7, 0x2f800000, v4
	v_trunc_f32_e32 v7, v7
	v_mac_f32_e32 v4, 0xcf800000, v7
	v_cvt_u32_f32_e32 v7, v7
	v_cvt_u32_f32_e32 v4, v4
	v_mul_lo_u32 v8, s0, v7
	v_mul_hi_u32 v10, s0, v4
	v_mul_lo_u32 v12, s1, v4
	v_mul_lo_u32 v11, s0, v4
	v_add_u32_e32 v8, v10, v8
	v_add_u32_e32 v8, v8, v12
	v_mul_hi_u32 v10, v4, v11
	v_mul_lo_u32 v12, v4, v8
	v_mul_hi_u32 v14, v4, v8
	v_mul_hi_u32 v13, v7, v11
	v_mul_lo_u32 v11, v7, v11
	v_mul_hi_u32 v15, v7, v8
	v_add_co_u32_e32 v10, vcc, v10, v12
	v_addc_co_u32_e32 v12, vcc, 0, v14, vcc
	v_mul_lo_u32 v8, v7, v8
	v_add_co_u32_e32 v10, vcc, v10, v11
	v_addc_co_u32_e32 v10, vcc, v12, v13, vcc
	v_addc_co_u32_e32 v11, vcc, 0, v15, vcc
	v_add_co_u32_e32 v8, vcc, v10, v8
	v_addc_co_u32_e32 v10, vcc, 0, v11, vcc
	v_add_co_u32_e32 v4, vcc, v4, v8
	v_addc_co_u32_e32 v7, vcc, v7, v10, vcc
	v_mul_lo_u32 v8, s0, v7
	v_mul_hi_u32 v10, s0, v4
	v_mul_lo_u32 v11, s1, v4
	v_mul_lo_u32 v12, s0, v4
	v_add_u32_e32 v8, v10, v8
	v_add_u32_e32 v8, v8, v11
	v_mul_lo_u32 v13, v4, v8
	v_mul_hi_u32 v14, v4, v12
	v_mul_hi_u32 v15, v4, v8
	;; [unrolled: 1-line block ×3, first 2 shown]
	v_mul_lo_u32 v12, v7, v12
	v_mul_hi_u32 v10, v7, v8
	v_add_co_u32_e32 v13, vcc, v14, v13
	v_addc_co_u32_e32 v14, vcc, 0, v15, vcc
	v_mul_lo_u32 v8, v7, v8
	v_add_co_u32_e32 v12, vcc, v13, v12
	v_addc_co_u32_e32 v11, vcc, v14, v11, vcc
	v_addc_co_u32_e32 v10, vcc, 0, v10, vcc
	v_add_co_u32_e32 v8, vcc, v11, v8
	v_addc_co_u32_e32 v10, vcc, 0, v10, vcc
	v_add_co_u32_e32 v4, vcc, v4, v8
	v_addc_co_u32_e32 v10, vcc, v7, v10, vcc
	v_mad_u64_u32 v[7:8], s[0:1], v5, v10, 0
	v_mul_hi_u32 v11, v5, v4
	v_add_co_u32_e32 v12, vcc, v11, v7
	v_addc_co_u32_e32 v13, vcc, 0, v8, vcc
	v_mad_u64_u32 v[7:8], s[0:1], v6, v4, 0
	v_mad_u64_u32 v[10:11], s[0:1], v6, v10, 0
	v_add_co_u32_e32 v4, vcc, v12, v7
	v_addc_co_u32_e32 v4, vcc, v13, v8, vcc
	v_addc_co_u32_e32 v7, vcc, 0, v11, vcc
	v_add_co_u32_e32 v4, vcc, v4, v10
	v_addc_co_u32_e32 v10, vcc, 0, v7, vcc
	v_mul_lo_u32 v11, s19, v4
	v_mul_lo_u32 v12, s18, v10
	v_mad_u64_u32 v[7:8], s[0:1], s18, v4, 0
	v_add3_u32 v8, v8, v12, v11
	v_sub_u32_e32 v11, v6, v8
	v_mov_b32_e32 v12, s19
	v_sub_co_u32_e32 v7, vcc, v5, v7
	v_subb_co_u32_e64 v11, s[0:1], v11, v12, vcc
	v_subrev_co_u32_e64 v12, s[0:1], s18, v7
	v_subbrev_co_u32_e64 v11, s[0:1], 0, v11, s[0:1]
	v_cmp_le_u32_e64 s[0:1], s19, v11
	v_cndmask_b32_e64 v13, 0, -1, s[0:1]
	v_cmp_le_u32_e64 s[0:1], s18, v12
	v_cndmask_b32_e64 v12, 0, -1, s[0:1]
	v_cmp_eq_u32_e64 s[0:1], s19, v11
	v_cndmask_b32_e64 v11, v13, v12, s[0:1]
	v_add_co_u32_e64 v12, s[0:1], 2, v4
	v_addc_co_u32_e64 v13, s[0:1], 0, v10, s[0:1]
	v_add_co_u32_e64 v14, s[0:1], 1, v4
	v_addc_co_u32_e64 v15, s[0:1], 0, v10, s[0:1]
	v_subb_co_u32_e32 v8, vcc, v6, v8, vcc
	v_cmp_ne_u32_e64 s[0:1], 0, v11
	v_cmp_le_u32_e32 vcc, s19, v8
	v_cndmask_b32_e64 v11, v15, v13, s[0:1]
	v_cndmask_b32_e64 v13, 0, -1, vcc
	v_cmp_le_u32_e32 vcc, s18, v7
	v_cndmask_b32_e64 v7, 0, -1, vcc
	v_cmp_eq_u32_e32 vcc, s19, v8
	v_cndmask_b32_e32 v7, v13, v7, vcc
	v_cmp_ne_u32_e32 vcc, 0, v7
	v_cndmask_b32_e64 v7, v14, v12, s[0:1]
	v_cndmask_b32_e32 v8, v10, v11, vcc
	v_cndmask_b32_e32 v7, v4, v7, vcc
.LBB0_4:                                ;   in Loop: Header=BB0_2 Depth=1
	s_andn2_saveexec_b64 s[0:1], s[20:21]
	s_cbranch_execz .LBB0_6
; %bb.5:                                ;   in Loop: Header=BB0_2 Depth=1
	v_cvt_f32_u32_e32 v4, s18
	s_sub_i32 s20, 0, s18
	v_rcp_iflag_f32_e32 v4, v4
	v_mul_f32_e32 v4, 0x4f7ffffe, v4
	v_cvt_u32_f32_e32 v4, v4
	v_mul_lo_u32 v7, s20, v4
	v_mul_hi_u32 v7, v4, v7
	v_add_u32_e32 v4, v4, v7
	v_mul_hi_u32 v4, v5, v4
	v_mul_lo_u32 v7, v4, s18
	v_add_u32_e32 v8, 1, v4
	v_sub_u32_e32 v7, v5, v7
	v_subrev_u32_e32 v10, s18, v7
	v_cmp_le_u32_e32 vcc, s18, v7
	v_cndmask_b32_e32 v7, v7, v10, vcc
	v_cndmask_b32_e32 v4, v4, v8, vcc
	v_add_u32_e32 v8, 1, v4
	v_cmp_le_u32_e32 vcc, s18, v7
	v_cndmask_b32_e32 v7, v4, v8, vcc
	v_mov_b32_e32 v8, v3
.LBB0_6:                                ;   in Loop: Header=BB0_2 Depth=1
	s_or_b64 exec, exec, s[0:1]
	v_mul_lo_u32 v4, v8, s18
	v_mul_lo_u32 v12, v7, s19
	v_mad_u64_u32 v[10:11], s[0:1], v7, s18, 0
	s_load_dwordx2 s[0:1], s[6:7], 0x0
	s_add_u32 s16, s16, 1
	v_add3_u32 v4, v11, v12, v4
	v_sub_co_u32_e32 v5, vcc, v5, v10
	v_subb_co_u32_e32 v4, vcc, v6, v4, vcc
	s_waitcnt lgkmcnt(0)
	v_mul_lo_u32 v4, s0, v4
	v_mul_lo_u32 v6, s1, v5
	v_mad_u64_u32 v[1:2], s[0:1], s0, v5, v[1:2]
	s_addc_u32 s17, s17, 0
	s_add_u32 s6, s6, 8
	v_add3_u32 v2, v6, v2, v4
	v_mov_b32_e32 v4, s10
	v_mov_b32_e32 v5, s11
	s_addc_u32 s7, s7, 0
	v_cmp_ge_u64_e32 vcc, s[16:17], v[4:5]
	s_add_u32 s14, s14, 8
	s_addc_u32 s15, s15, 0
	s_cbranch_vccnz .LBB0_9
; %bb.7:                                ;   in Loop: Header=BB0_2 Depth=1
	v_mov_b32_e32 v5, v7
	v_mov_b32_e32 v6, v8
	s_branch .LBB0_2
.LBB0_8:
	v_mov_b32_e32 v8, v6
	v_mov_b32_e32 v7, v5
.LBB0_9:
	s_lshl_b64 s[0:1], s[10:11], 3
	s_add_u32 s0, s2, s0
	s_addc_u32 s1, s3, s1
	s_load_dwordx2 s[2:3], s[0:1], 0x0
	s_load_dwordx2 s[6:7], s[4:5], 0x20
	v_mov_b32_e32 v6, 0x153
	s_waitcnt lgkmcnt(0)
	v_mul_lo_u32 v4, s2, v8
	v_mul_lo_u32 v5, s3, v7
	v_mad_u64_u32 v[2:3], s[0:1], s2, v7, v[1:2]
	s_mov_b32 s0, 0x9d89d8a
	v_and_b32_e32 v1, 1, v9
	v_add3_u32 v3, v5, v3, v4
	v_mul_hi_u32 v4, v0, s0
	v_cmp_eq_u32_e32 vcc, 1, v1
	v_cndmask_b32_e32 v1, 0, v6, vcc
	v_cmp_gt_u64_e64 s[0:1], s[6:7], v[7:8]
	v_mul_u32_u24_e32 v4, 26, v4
	v_lshlrev_b64 v[58:59], 4, v[2:3]
	v_sub_u32_e32 v56, v0, v4
	v_lshlrev_b32_e32 v62, 4, v1
	s_and_saveexec_b64 s[2:3], s[0:1]
	s_cbranch_execz .LBB0_13
; %bb.10:
	v_mov_b32_e32 v57, 0
	v_mov_b32_e32 v0, s13
	v_add_co_u32_e32 v2, vcc, s12, v58
	v_lshlrev_b64 v[3:4], 4, v[56:57]
	v_addc_co_u32_e32 v0, vcc, v0, v59, vcc
	v_add_co_u32_e32 v44, vcc, v2, v3
	v_addc_co_u32_e32 v45, vcc, v0, v4, vcc
	v_add_co_u32_e32 v60, vcc, 0x1000, v44
	v_addc_co_u32_e32 v61, vcc, 0, v45, vcc
	global_load_dwordx4 v[4:7], v[44:45], off
	global_load_dwordx4 v[8:11], v[44:45], off offset:416
	global_load_dwordx4 v[12:15], v[44:45], off offset:832
	;; [unrolled: 1-line block ×9, first 2 shown]
	s_nop 0
	global_load_dwordx4 v[44:47], v[60:61], off offset:64
	global_load_dwordx4 v[48:51], v[60:61], off offset:480
	;; [unrolled: 1-line block ×3, first 2 shown]
	v_lshlrev_b32_e32 v3, 4, v56
	v_add3_u32 v3, 0, v62, v3
	v_cmp_eq_u32_e32 vcc, 25, v56
	s_waitcnt vmcnt(12)
	ds_write_b128 v3, v[4:7]
	s_waitcnt vmcnt(11)
	ds_write_b128 v3, v[8:11] offset:416
	s_waitcnt vmcnt(10)
	ds_write_b128 v3, v[12:15] offset:832
	;; [unrolled: 2-line block ×12, first 2 shown]
	s_and_saveexec_b64 s[4:5], vcc
	s_cbranch_execz .LBB0_12
; %bb.11:
	v_add_co_u32_e32 v4, vcc, 0x1000, v2
	v_addc_co_u32_e32 v5, vcc, 0, v0, vcc
	global_load_dwordx4 v[4:7], v[4:5], off offset:1312
	v_mov_b32_e32 v56, 25
	s_waitcnt vmcnt(0)
	ds_write_b128 v3, v[4:7] offset:5008
.LBB0_12:
	s_or_b64 exec, exec, s[4:5]
.LBB0_13:
	s_or_b64 exec, exec, s[2:3]
	v_lshl_add_u32 v60, v1, 4, 0
	v_lshlrev_b32_e32 v10, 4, v56
	v_add_u32_e32 v61, v60, v10
	s_waitcnt lgkmcnt(0)
	; wave barrier
	s_waitcnt lgkmcnt(0)
	v_sub_u32_e32 v11, v60, v10
	ds_read_b64 v[6:7], v61
	ds_read_b64 v[8:9], v11 offset:5408
	s_add_u32 s4, s8, 0x1450
	s_addc_u32 s5, s9, 0
	v_cmp_ne_u32_e32 vcc, 0, v56
                                        ; implicit-def: $vgpr4_vgpr5
	s_waitcnt lgkmcnt(0)
	v_add_f64 v[0:1], v[6:7], v[8:9]
	v_add_f64 v[2:3], v[6:7], -v[8:9]
	s_and_saveexec_b64 s[2:3], vcc
	s_xor_b64 s[2:3], exec, s[2:3]
	s_cbranch_execz .LBB0_15
; %bb.14:
	v_mov_b32_e32 v57, 0
	v_lshlrev_b64 v[0:1], 4, v[56:57]
	v_mov_b32_e32 v2, s5
	v_add_co_u32_e32 v0, vcc, s4, v0
	v_addc_co_u32_e32 v1, vcc, v2, v1, vcc
	global_load_dwordx4 v[2:5], v[0:1], off
	ds_read_b64 v[0:1], v11 offset:5416
	ds_read_b64 v[12:13], v61 offset:8
	v_add_f64 v[14:15], v[6:7], v[8:9]
	v_add_f64 v[8:9], v[6:7], -v[8:9]
	s_waitcnt lgkmcnt(0)
	v_add_f64 v[16:17], v[0:1], v[12:13]
	v_add_f64 v[0:1], v[12:13], -v[0:1]
	s_waitcnt vmcnt(0)
	v_fma_f64 v[6:7], -v[8:9], v[4:5], v[14:15]
	v_fma_f64 v[12:13], v[16:17], v[4:5], -v[0:1]
	v_fma_f64 v[14:15], v[8:9], v[4:5], v[14:15]
	v_fma_f64 v[18:19], v[16:17], v[4:5], v[0:1]
	;; [unrolled: 1-line block ×4, first 2 shown]
	v_fma_f64 v[0:1], -v[16:17], v[2:3], v[14:15]
	v_fma_f64 v[2:3], v[8:9], v[2:3], v[18:19]
	ds_write_b128 v11, v[4:7] offset:5408
	v_mov_b32_e32 v4, v56
	v_mov_b32_e32 v5, v57
.LBB0_15:
	s_andn2_saveexec_b64 s[2:3], s[2:3]
	s_cbranch_execz .LBB0_17
; %bb.16:
	ds_read_b128 v[4:7], v60 offset:2704
	s_waitcnt lgkmcnt(0)
	v_add_f64 v[12:13], v[4:5], v[4:5]
	v_mul_f64 v[14:15], v[6:7], -2.0
	v_mov_b32_e32 v4, 0
	v_mov_b32_e32 v5, 0
	ds_write_b128 v60, v[12:15] offset:2704
.LBB0_17:
	s_or_b64 exec, exec, s[2:3]
	v_lshlrev_b64 v[4:5], 4, v[4:5]
	v_mov_b32_e32 v6, s5
	v_add_co_u32_e32 v4, vcc, s4, v4
	v_addc_co_u32_e32 v5, vcc, v6, v5, vcc
	global_load_dwordx4 v[6:9], v[4:5], off offset:416
	global_load_dwordx4 v[12:15], v[4:5], off offset:832
	ds_write_b128 v61, v[0:3]
	ds_read_b128 v[0:3], v61 offset:416
	ds_read_b128 v[16:19], v11 offset:4992
	global_load_dwordx4 v[20:23], v[4:5], off offset:1248
	v_cmp_gt_u32_e32 vcc, 13, v56
	s_waitcnt lgkmcnt(0)
	v_add_f64 v[24:25], v[0:1], v[16:17]
	v_add_f64 v[26:27], v[18:19], v[2:3]
	v_add_f64 v[28:29], v[0:1], -v[16:17]
	v_add_f64 v[0:1], v[2:3], -v[18:19]
	s_waitcnt vmcnt(2)
	v_fma_f64 v[2:3], v[28:29], v[8:9], v[24:25]
	v_fma_f64 v[16:17], v[26:27], v[8:9], v[0:1]
	v_fma_f64 v[18:19], -v[28:29], v[8:9], v[24:25]
	v_fma_f64 v[8:9], v[26:27], v[8:9], -v[0:1]
	v_fma_f64 v[0:1], -v[26:27], v[6:7], v[2:3]
	v_fma_f64 v[2:3], v[28:29], v[6:7], v[16:17]
	v_fma_f64 v[16:17], v[26:27], v[6:7], v[18:19]
	;; [unrolled: 1-line block ×3, first 2 shown]
	ds_write_b128 v61, v[0:3] offset:416
	ds_write_b128 v11, v[16:19] offset:4992
	ds_read_b128 v[0:3], v61 offset:832
	ds_read_b128 v[6:9], v11 offset:4576
	global_load_dwordx4 v[16:19], v[4:5], off offset:1664
	s_waitcnt lgkmcnt(0)
	v_add_f64 v[24:25], v[0:1], v[6:7]
	v_add_f64 v[26:27], v[8:9], v[2:3]
	v_add_f64 v[28:29], v[0:1], -v[6:7]
	v_add_f64 v[0:1], v[2:3], -v[8:9]
	s_waitcnt vmcnt(2)
	v_fma_f64 v[2:3], v[28:29], v[14:15], v[24:25]
	v_fma_f64 v[6:7], v[26:27], v[14:15], v[0:1]
	v_fma_f64 v[8:9], -v[28:29], v[14:15], v[24:25]
	v_fma_f64 v[14:15], v[26:27], v[14:15], -v[0:1]
	v_fma_f64 v[0:1], -v[26:27], v[12:13], v[2:3]
	v_fma_f64 v[2:3], v[28:29], v[12:13], v[6:7]
	v_fma_f64 v[6:7], v[26:27], v[12:13], v[8:9]
	;; [unrolled: 1-line block ×3, first 2 shown]
	ds_write_b128 v61, v[0:3] offset:832
	ds_write_b128 v11, v[6:9] offset:4576
	ds_read_b128 v[0:3], v61 offset:1248
	ds_read_b128 v[6:9], v11 offset:4160
	global_load_dwordx4 v[12:15], v[4:5], off offset:2080
	s_waitcnt lgkmcnt(0)
	v_add_f64 v[24:25], v[0:1], v[6:7]
	v_add_f64 v[26:27], v[8:9], v[2:3]
	v_add_f64 v[28:29], v[0:1], -v[6:7]
	v_add_f64 v[0:1], v[2:3], -v[8:9]
	s_waitcnt vmcnt(2)
	v_fma_f64 v[2:3], v[28:29], v[22:23], v[24:25]
	v_fma_f64 v[6:7], v[26:27], v[22:23], v[0:1]
	v_fma_f64 v[8:9], -v[28:29], v[22:23], v[24:25]
	v_fma_f64 v[22:23], v[26:27], v[22:23], -v[0:1]
	v_fma_f64 v[0:1], -v[26:27], v[20:21], v[2:3]
	v_fma_f64 v[2:3], v[28:29], v[20:21], v[6:7]
	v_fma_f64 v[6:7], v[26:27], v[20:21], v[8:9]
	;; [unrolled: 1-line block ×3, first 2 shown]
	ds_write_b128 v61, v[0:3] offset:1248
	ds_write_b128 v11, v[6:9] offset:4160
	ds_read_b128 v[0:3], v61 offset:1664
	ds_read_b128 v[6:9], v11 offset:3744
	s_waitcnt lgkmcnt(0)
	v_add_f64 v[20:21], v[0:1], v[6:7]
	v_add_f64 v[22:23], v[8:9], v[2:3]
	v_add_f64 v[24:25], v[0:1], -v[6:7]
	v_add_f64 v[0:1], v[2:3], -v[8:9]
	s_waitcnt vmcnt(1)
	v_fma_f64 v[2:3], v[24:25], v[18:19], v[20:21]
	v_fma_f64 v[6:7], v[22:23], v[18:19], v[0:1]
	v_fma_f64 v[8:9], -v[24:25], v[18:19], v[20:21]
	v_fma_f64 v[18:19], v[22:23], v[18:19], -v[0:1]
	v_fma_f64 v[0:1], -v[22:23], v[16:17], v[2:3]
	v_fma_f64 v[2:3], v[24:25], v[16:17], v[6:7]
	v_fma_f64 v[6:7], v[22:23], v[16:17], v[8:9]
	;; [unrolled: 1-line block ×3, first 2 shown]
	ds_write_b128 v61, v[0:3] offset:1664
	ds_write_b128 v11, v[6:9] offset:3744
	ds_read_b128 v[0:3], v61 offset:2080
	ds_read_b128 v[6:9], v11 offset:3328
	s_waitcnt lgkmcnt(0)
	v_add_f64 v[16:17], v[0:1], v[6:7]
	v_add_f64 v[18:19], v[8:9], v[2:3]
	v_add_f64 v[20:21], v[0:1], -v[6:7]
	v_add_f64 v[0:1], v[2:3], -v[8:9]
	s_waitcnt vmcnt(0)
	v_fma_f64 v[2:3], v[20:21], v[14:15], v[16:17]
	v_fma_f64 v[6:7], v[18:19], v[14:15], v[0:1]
	v_fma_f64 v[8:9], -v[20:21], v[14:15], v[16:17]
	v_fma_f64 v[14:15], v[18:19], v[14:15], -v[0:1]
	v_fma_f64 v[0:1], -v[18:19], v[12:13], v[2:3]
	v_fma_f64 v[2:3], v[20:21], v[12:13], v[6:7]
	v_fma_f64 v[6:7], v[18:19], v[12:13], v[8:9]
	;; [unrolled: 1-line block ×3, first 2 shown]
	ds_write_b128 v61, v[0:3] offset:2080
	ds_write_b128 v11, v[6:9] offset:3328
	s_and_saveexec_b64 s[2:3], vcc
	s_cbranch_execz .LBB0_19
; %bb.18:
	global_load_dwordx4 v[0:3], v[4:5], off offset:2496
	ds_read_b128 v[4:7], v61 offset:2496
	ds_read_b128 v[12:15], v11 offset:2912
	s_waitcnt lgkmcnt(0)
	v_add_f64 v[8:9], v[4:5], v[12:13]
	v_add_f64 v[16:17], v[14:15], v[6:7]
	v_add_f64 v[12:13], v[4:5], -v[12:13]
	v_add_f64 v[4:5], v[6:7], -v[14:15]
	s_waitcnt vmcnt(0)
	v_fma_f64 v[6:7], v[12:13], v[2:3], v[8:9]
	v_fma_f64 v[14:15], v[16:17], v[2:3], v[4:5]
	v_fma_f64 v[8:9], -v[12:13], v[2:3], v[8:9]
	v_fma_f64 v[18:19], v[16:17], v[2:3], -v[4:5]
	v_fma_f64 v[2:3], -v[16:17], v[0:1], v[6:7]
	v_fma_f64 v[4:5], v[12:13], v[0:1], v[14:15]
	v_fma_f64 v[6:7], v[16:17], v[0:1], v[8:9]
	;; [unrolled: 1-line block ×3, first 2 shown]
	ds_write_b128 v61, v[2:5] offset:2496
	ds_write_b128 v11, v[6:9] offset:2912
.LBB0_19:
	s_or_b64 exec, exec, s[2:3]
	s_waitcnt lgkmcnt(0)
	; wave barrier
	s_waitcnt lgkmcnt(0)
	s_waitcnt lgkmcnt(0)
	; wave barrier
	s_waitcnt lgkmcnt(0)
	v_add3_u32 v57, 0, v10, v62
	ds_read_b128 v[0:3], v61
	ds_read_b128 v[4:7], v57 offset:416
	ds_read_b128 v[8:11], v57 offset:832
	;; [unrolled: 1-line block ×5, first 2 shown]
	s_waitcnt lgkmcnt(4)
	v_add_f64 v[12:13], v[0:1], v[4:5]
	v_add_f64 v[14:15], v[2:3], v[6:7]
	ds_read_b128 v[16:19], v57 offset:2496
	ds_read_b128 v[20:23], v57 offset:2912
	;; [unrolled: 1-line block ×7, first 2 shown]
	s_mov_b32 s22, 0x42a4c3d2
	s_mov_b32 s26, 0x66966769
	;; [unrolled: 1-line block ×3, first 2 shown]
	s_waitcnt lgkmcnt(10)
	v_add_f64 v[12:13], v[12:13], v[8:9]
	v_add_f64 v[14:15], v[14:15], v[10:11]
	s_waitcnt lgkmcnt(3)
	v_add_f64 v[38:39], v[36:37], -v[50:51]
	s_waitcnt lgkmcnt(0)
	v_add_f64 v[73:74], v[6:7], -v[69:70]
	s_mov_b32 s16, 0x4267c47c
	s_mov_b32 s23, 0xbfea55e2
	;; [unrolled: 1-line block ×4, first 2 shown]
	v_add_f64 v[12:13], v[12:13], v[40:41]
	v_add_f64 v[14:15], v[14:15], v[42:43]
	s_mov_b32 s10, 0x1ea71119
	v_mul_f64 v[75:76], v[73:74], s[26:27]
	s_mov_b32 s2, 0xebaa3ed8
	s_mov_b32 s6, 0x2ef20147
	;; [unrolled: 1-line block ×4, first 2 shown]
	v_add_f64 v[12:13], v[12:13], v[34:35]
	v_add_f64 v[14:15], v[14:15], v[36:37]
	s_mov_b32 s15, 0x3fec55a7
	s_mov_b32 s11, 0x3fe22d96
	;; [unrolled: 1-line block ×6, first 2 shown]
	v_add_f64 v[12:13], v[12:13], v[24:25]
	v_add_f64 v[14:15], v[14:15], v[26:27]
	s_mov_b32 s4, 0xb2365da1
	s_mov_b32 s20, 0xd0032e0c
	;; [unrolled: 1-line block ×6, first 2 shown]
	v_add_f64 v[28:29], v[12:13], v[16:17]
	v_add_f64 v[30:31], v[14:15], v[18:19]
	;; [unrolled: 1-line block ×3, first 2 shown]
	v_add_f64 v[16:17], v[16:17], -v[20:21]
	v_add_f64 v[12:13], v[18:19], v[22:23]
	v_add_f64 v[18:19], v[18:19], -v[22:23]
	s_mov_b32 s35, 0x3fe5384d
	s_mov_b32 s34, s18
	v_add_f64 v[28:29], v[28:29], v[20:21]
	v_add_f64 v[32:33], v[30:31], v[22:23]
	;; [unrolled: 1-line block ×3, first 2 shown]
	v_add_f64 v[30:31], v[26:27], -v[46:47]
	v_add_f64 v[22:23], v[24:25], v[44:45]
	v_add_f64 v[24:25], v[24:25], -v[44:45]
	v_add_f64 v[26:27], v[34:35], v[48:49]
	;; [unrolled: 2-line block ×3, first 2 shown]
	v_add_f64 v[46:47], v[32:33], v[46:47]
	v_add_f64 v[28:29], v[36:37], v[50:51]
	;; [unrolled: 1-line block ×4, first 2 shown]
	v_add_f64 v[44:45], v[40:41], -v[52:53]
	v_add_f64 v[40:41], v[10:11], v[65:66]
	v_mul_f64 v[117:118], v[34:35], s[6:7]
	v_add_f64 v[71:72], v[71:72], v[48:49]
	v_add_f64 v[50:51], v[46:47], v[50:51]
	v_add_f64 v[46:47], v[42:43], -v[54:55]
	v_add_f64 v[42:43], v[8:9], v[63:64]
	v_add_f64 v[48:49], v[8:9], -v[63:64]
	v_add_f64 v[8:9], v[4:5], v[67:68]
	v_mul_f64 v[113:114], v[44:45], s[26:27]
	v_mul_f64 v[123:124], v[18:19], s[28:29]
	v_add_f64 v[52:53], v[71:72], v[52:53]
	v_add_f64 v[54:55], v[50:51], v[54:55]
	v_add_f64 v[50:51], v[10:11], -v[65:66]
	v_add_f64 v[10:11], v[6:7], v[69:70]
	v_mul_f64 v[6:7], v[73:74], s[16:17]
	v_add_f64 v[71:72], v[4:5], -v[67:68]
	v_mul_f64 v[4:5], v[73:74], s[22:23]
	v_mul_f64 v[105:106], v[48:49], s[22:23]
	v_add_f64 v[52:53], v[52:53], v[63:64]
	v_add_f64 v[54:55], v[54:55], v[65:66]
	v_mul_f64 v[63:64], v[73:74], s[6:7]
	v_mul_f64 v[65:66], v[73:74], s[18:19]
	v_fma_f64 v[77:78], v[8:9], s[14:15], -v[6:7]
	v_fma_f64 v[79:80], v[8:9], s[14:15], v[6:7]
	v_fma_f64 v[81:82], v[8:9], s[10:11], -v[4:5]
	v_fma_f64 v[83:84], v[8:9], s[10:11], v[4:5]
	v_add_f64 v[4:5], v[52:53], v[67:68]
	v_add_f64 v[6:7], v[54:55], v[69:70]
	v_fma_f64 v[52:53], v[8:9], s[2:3], -v[75:76]
	v_fma_f64 v[54:55], v[8:9], s[2:3], v[75:76]
	v_mul_f64 v[67:68], v[73:74], s[28:29]
	v_mul_f64 v[75:76], v[71:72], s[16:17]
	v_fma_f64 v[69:70], v[8:9], s[4:5], -v[63:64]
	v_fma_f64 v[63:64], v[8:9], s[4:5], v[63:64]
	v_fma_f64 v[73:74], v[8:9], s[20:21], -v[65:66]
	v_fma_f64 v[65:66], v[8:9], s[20:21], v[65:66]
	v_mul_f64 v[87:88], v[71:72], s[22:23]
	v_mul_f64 v[91:92], v[71:72], s[6:7]
	v_fma_f64 v[85:86], v[8:9], s[24:25], -v[67:68]
	v_fma_f64 v[8:9], v[8:9], s[24:25], v[67:68]
	v_mul_f64 v[67:68], v[71:72], s[26:27]
	v_fma_f64 v[89:90], v[10:11], s[14:15], v[75:76]
	v_mul_f64 v[93:94], v[71:72], s[18:19]
	v_mul_f64 v[71:72], v[71:72], s[28:29]
	v_fma_f64 v[75:76], v[10:11], s[14:15], -v[75:76]
	v_fma_f64 v[95:96], v[10:11], s[10:11], v[87:88]
	v_fma_f64 v[87:88], v[10:11], s[10:11], -v[87:88]
	v_fma_f64 v[99:100], v[10:11], s[4:5], v[91:92]
	v_fma_f64 v[97:98], v[10:11], s[2:3], v[67:68]
	v_fma_f64 v[67:68], v[10:11], s[2:3], -v[67:68]
	v_fma_f64 v[91:92], v[10:11], s[4:5], -v[91:92]
	v_fma_f64 v[101:102], v[10:11], s[20:21], v[93:94]
	v_fma_f64 v[93:94], v[10:11], s[20:21], -v[93:94]
	v_fma_f64 v[103:104], v[10:11], s[24:25], v[71:72]
	v_fma_f64 v[10:11], v[10:11], s[24:25], -v[71:72]
	v_add_f64 v[71:72], v[0:1], v[77:78]
	v_add_f64 v[77:78], v[2:3], v[89:90]
	v_mul_f64 v[89:90], v[50:51], s[22:23]
	v_add_f64 v[107:108], v[0:1], v[52:53]
	v_add_f64 v[109:110], v[0:1], v[54:55]
	v_fma_f64 v[54:55], v[40:41], s[10:11], v[105:106]
	v_mul_f64 v[111:112], v[46:47], s[26:27]
	v_add_f64 v[115:116], v[0:1], v[63:64]
	v_add_f64 v[119:120], v[0:1], v[73:74]
	;; [unrolled: 1-line block ×3, first 2 shown]
	v_fma_f64 v[52:53], v[42:43], s[10:11], -v[89:90]
	v_fma_f64 v[65:66], v[28:29], s[4:5], v[117:118]
	v_mul_f64 v[73:74], v[24:25], s[18:19]
	v_add_f64 v[54:55], v[54:55], v[77:78]
	v_fma_f64 v[63:64], v[36:37], s[2:3], -v[111:112]
	v_mul_f64 v[77:78], v[38:39], s[6:7]
	v_add_f64 v[79:80], v[0:1], v[79:80]
	v_fma_f64 v[89:90], v[42:43], s[10:11], v[89:90]
	v_add_f64 v[52:53], v[52:53], v[71:72]
	v_fma_f64 v[71:72], v[32:33], s[2:3], v[113:114]
	v_add_f64 v[75:76], v[2:3], v[75:76]
	v_add_f64 v[81:82], v[0:1], v[81:82]
	;; [unrolled: 1-line block ×8, first 2 shown]
	v_fma_f64 v[63:64], v[26:27], s[4:5], -v[77:78]
	v_mul_f64 v[71:72], v[30:31], s[18:19]
	v_fma_f64 v[89:90], v[40:41], s[10:11], -v[105:106]
	v_mul_f64 v[105:106], v[16:17], s[28:29]
	v_fma_f64 v[111:112], v[36:37], s[2:3], v[111:112]
	v_add_f64 v[125:126], v[0:1], v[8:9]
	v_fma_f64 v[8:9], v[14:15], s[24:25], -v[123:124]
	v_add_f64 v[54:55], v[65:66], v[54:55]
	v_add_f64 v[52:53], v[63:64], v[52:53]
	v_fma_f64 v[63:64], v[22:23], s[20:21], -v[71:72]
	v_fma_f64 v[65:66], v[20:21], s[20:21], v[73:74]
	v_add_f64 v[95:96], v[2:3], v[95:96]
	v_add_f64 v[87:88], v[2:3], v[87:88]
	;; [unrolled: 1-line block ×8, first 2 shown]
	v_mul_f64 v[54:55], v[50:51], s[6:7]
	v_add_f64 v[101:102], v[2:3], v[101:102]
	v_add_f64 v[93:94], v[2:3], v[93:94]
	;; [unrolled: 1-line block ×4, first 2 shown]
	v_fma_f64 v[65:66], v[12:13], s[24:25], v[105:106]
	v_add_f64 v[75:76], v[111:112], v[79:80]
	v_fma_f64 v[79:80], v[32:33], s[2:3], -v[113:114]
	v_fma_f64 v[77:78], v[26:27], s[4:5], v[77:78]
	v_add_f64 v[89:90], v[2:3], v[10:11]
	v_add_f64 v[8:9], v[8:9], v[0:1]
	v_fma_f64 v[0:1], v[42:43], s[4:5], -v[54:55]
	v_mul_f64 v[2:3], v[48:49], s[6:7]
	v_mul_f64 v[111:112], v[46:47], s[28:29]
	v_add_f64 v[10:11], v[65:66], v[52:53]
	v_add_f64 v[52:53], v[79:80], v[63:64]
	;; [unrolled: 1-line block ×3, first 2 shown]
	v_fma_f64 v[65:66], v[28:29], s[4:5], -v[117:118]
	v_fma_f64 v[71:72], v[22:23], s[20:21], v[71:72]
	v_add_f64 v[0:1], v[0:1], v[81:82]
	v_fma_f64 v[75:76], v[40:41], s[4:5], v[2:3]
	v_fma_f64 v[77:78], v[36:37], s[24:25], -v[111:112]
	v_mul_f64 v[79:80], v[44:45], s[28:29]
	v_mul_f64 v[81:82], v[38:39], s[34:35]
	s_mov_b32 s31, 0x3fefc445
	v_add_f64 v[52:53], v[65:66], v[52:53]
	v_add_f64 v[63:64], v[71:72], v[63:64]
	v_fma_f64 v[65:66], v[20:21], s[20:21], -v[73:74]
	v_add_f64 v[71:72], v[75:76], v[95:96]
	v_add_f64 v[0:1], v[77:78], v[0:1]
	v_fma_f64 v[73:74], v[32:33], s[24:25], v[79:80]
	v_fma_f64 v[75:76], v[26:27], s[20:21], -v[81:82]
	v_mul_f64 v[77:78], v[34:35], s[34:35]
	s_mov_b32 s30, s26
	v_mul_f64 v[95:96], v[30:31], s[30:31]
	v_add_f64 v[52:53], v[65:66], v[52:53]
	v_fma_f64 v[65:66], v[14:15], s[24:25], v[123:124]
	v_fma_f64 v[54:55], v[42:43], s[4:5], v[54:55]
	v_add_f64 v[71:72], v[73:74], v[71:72]
	v_add_f64 v[73:74], v[75:76], v[0:1]
	v_fma_f64 v[75:76], v[28:29], s[20:21], v[77:78]
	v_mul_f64 v[117:118], v[24:25], s[30:31]
	s_mov_b32 s17, 0x3fddbe06
	v_fma_f64 v[113:114], v[22:23], s[2:3], -v[95:96]
	v_mul_f64 v[123:124], v[18:19], s[16:17]
	v_add_f64 v[54:55], v[54:55], v[83:84]
	v_fma_f64 v[2:3], v[40:41], s[4:5], -v[2:3]
	v_fma_f64 v[83:84], v[36:37], s[24:25], v[111:112]
	v_add_f64 v[0:1], v[65:66], v[63:64]
	v_add_f64 v[63:64], v[75:76], v[71:72]
	v_fma_f64 v[71:72], v[20:21], s[2:3], v[117:118]
	v_fma_f64 v[105:106], v[12:13], s[24:25], -v[105:106]
	v_add_f64 v[65:66], v[113:114], v[73:74]
	v_fma_f64 v[73:74], v[14:15], s[14:15], -v[123:124]
	v_mul_f64 v[75:76], v[16:17], s[16:17]
	v_add_f64 v[87:88], v[2:3], v[87:88]
	v_add_f64 v[54:55], v[83:84], v[54:55]
	v_fma_f64 v[79:80], v[32:33], s[24:25], -v[79:80]
	v_fma_f64 v[81:82], v[26:27], s[20:21], v[81:82]
	v_add_f64 v[63:64], v[71:72], v[63:64]
	v_mul_f64 v[71:72], v[50:51], s[28:29]
	v_mul_f64 v[83:84], v[48:49], s[28:29]
	s_mov_b32 s37, 0x3fedeba7
	s_mov_b32 s36, s6
	v_add_f64 v[2:3], v[105:106], v[52:53]
	v_add_f64 v[52:53], v[73:74], v[65:66]
	v_fma_f64 v[65:66], v[12:13], s[14:15], v[75:76]
	v_add_f64 v[73:74], v[79:80], v[87:88]
	v_add_f64 v[79:80], v[81:82], v[54:55]
	v_fma_f64 v[77:78], v[28:29], s[20:21], -v[77:78]
	v_fma_f64 v[81:82], v[22:23], s[2:3], v[95:96]
	v_fma_f64 v[87:88], v[42:43], s[24:25], -v[71:72]
	v_fma_f64 v[95:96], v[40:41], s[24:25], v[83:84]
	v_mul_f64 v[105:106], v[46:47], s[36:37]
	v_mul_f64 v[111:112], v[44:45], s[36:37]
	v_add_f64 v[54:55], v[65:66], v[63:64]
	v_fma_f64 v[65:66], v[20:21], s[2:3], -v[117:118]
	v_add_f64 v[63:64], v[77:78], v[73:74]
	v_add_f64 v[73:74], v[81:82], v[79:80]
	;; [unrolled: 1-line block ×4, first 2 shown]
	v_fma_f64 v[81:82], v[36:37], s[4:5], -v[105:106]
	v_fma_f64 v[87:88], v[32:33], s[4:5], v[111:112]
	v_mul_f64 v[95:96], v[38:39], s[16:17]
	v_mul_f64 v[97:98], v[34:35], s[16:17]
	v_add_f64 v[65:66], v[65:66], v[63:64]
	v_fma_f64 v[63:64], v[14:15], s[14:15], v[123:124]
	v_fma_f64 v[71:72], v[42:43], s[24:25], v[71:72]
	v_mul_f64 v[107:108], v[30:31], s[22:23]
	v_add_f64 v[77:78], v[81:82], v[77:78]
	v_add_f64 v[79:80], v[87:88], v[79:80]
	v_fma_f64 v[81:82], v[26:27], s[14:15], -v[95:96]
	v_fma_f64 v[87:88], v[28:29], s[14:15], v[97:98]
	v_fma_f64 v[75:76], v[12:13], s[14:15], -v[75:76]
	v_mul_f64 v[113:114], v[24:25], s[22:23]
	v_add_f64 v[71:72], v[71:72], v[109:110]
	v_fma_f64 v[83:84], v[40:41], s[24:25], -v[83:84]
	v_fma_f64 v[105:106], v[36:37], s[4:5], v[105:106]
	v_add_f64 v[63:64], v[63:64], v[73:74]
	v_add_f64 v[73:74], v[81:82], v[77:78]
	;; [unrolled: 1-line block ×3, first 2 shown]
	v_fma_f64 v[79:80], v[22:23], s[10:11], -v[107:108]
	v_mul_f64 v[81:82], v[18:19], s[18:19]
	v_fma_f64 v[87:88], v[20:21], s[10:11], v[113:114]
	v_add_f64 v[67:68], v[83:84], v[67:68]
	v_add_f64 v[71:72], v[105:106], v[71:72]
	v_fma_f64 v[83:84], v[32:33], s[4:5], -v[111:112]
	v_fma_f64 v[95:96], v[26:27], s[14:15], v[95:96]
	v_add_f64 v[65:66], v[75:76], v[65:66]
	v_add_f64 v[73:74], v[79:80], v[73:74]
	v_fma_f64 v[75:76], v[14:15], s[20:21], -v[81:82]
	v_mul_f64 v[79:80], v[50:51], s[34:35]
	v_mul_f64 v[105:106], v[48:49], s[34:35]
	v_add_f64 v[77:78], v[87:88], v[77:78]
	v_add_f64 v[83:84], v[83:84], v[67:68]
	;; [unrolled: 1-line block ×3, first 2 shown]
	v_fma_f64 v[87:88], v[28:29], s[14:15], -v[97:98]
	v_fma_f64 v[95:96], v[22:23], s[10:11], v[107:108]
	v_add_f64 v[67:68], v[75:76], v[73:74]
	v_fma_f64 v[73:74], v[42:43], s[20:21], -v[79:80]
	v_fma_f64 v[75:76], v[40:41], s[20:21], v[105:106]
	v_mul_f64 v[97:98], v[46:47], s[16:17]
	v_mul_f64 v[107:108], v[44:45], s[16:17]
	;; [unrolled: 1-line block ×3, first 2 shown]
	v_add_f64 v[83:84], v[87:88], v[83:84]
	v_add_f64 v[71:72], v[95:96], v[71:72]
	v_fma_f64 v[87:88], v[20:21], s[10:11], -v[113:114]
	v_add_f64 v[69:70], v[73:74], v[69:70]
	v_add_f64 v[73:74], v[75:76], v[99:100]
	v_fma_f64 v[75:76], v[36:37], s[14:15], -v[97:98]
	v_fma_f64 v[95:96], v[32:33], s[14:15], v[107:108]
	v_mul_f64 v[99:100], v[38:39], s[26:27]
	v_mul_f64 v[111:112], v[34:35], s[26:27]
	v_fma_f64 v[113:114], v[12:13], s[20:21], v[109:110]
	s_mov_b32 s29, 0x3fcea1e5
	v_add_f64 v[83:84], v[87:88], v[83:84]
	v_fma_f64 v[81:82], v[14:15], s[20:21], v[81:82]
	v_fma_f64 v[87:88], v[12:13], s[20:21], -v[109:110]
	v_add_f64 v[75:76], v[75:76], v[69:70]
	v_add_f64 v[95:96], v[95:96], v[73:74]
	v_fma_f64 v[109:110], v[26:27], s[2:3], -v[99:100]
	v_fma_f64 v[117:118], v[28:29], s[2:3], v[111:112]
	v_mul_f64 v[123:124], v[30:31], s[28:29]
	v_add_f64 v[69:70], v[113:114], v[77:78]
	v_fma_f64 v[77:78], v[42:43], s[20:21], v[79:80]
	v_mul_f64 v[113:114], v[24:25], s[28:29]
	v_add_f64 v[71:72], v[81:82], v[71:72]
	v_add_f64 v[73:74], v[87:88], v[83:84]
	;; [unrolled: 1-line block ×4, first 2 shown]
	v_fma_f64 v[81:82], v[22:23], s[24:25], -v[123:124]
	v_fma_f64 v[83:84], v[40:41], s[20:21], -v[105:106]
	v_add_f64 v[77:78], v[77:78], v[115:116]
	v_fma_f64 v[95:96], v[36:37], s[14:15], v[97:98]
	s_mov_b32 s27, 0x3fea55e2
	s_mov_b32 s26, s22
	v_fma_f64 v[87:88], v[20:21], s[24:25], v[113:114]
	v_mul_f64 v[105:106], v[16:17], s[26:27]
	v_add_f64 v[75:76], v[81:82], v[75:76]
	v_add_f64 v[83:84], v[83:84], v[91:92]
	v_fma_f64 v[91:92], v[32:33], s[14:15], -v[107:108]
	v_add_f64 v[77:78], v[95:96], v[77:78]
	v_fma_f64 v[81:82], v[26:27], s[2:3], v[99:100]
	v_mul_f64 v[107:108], v[48:49], s[30:31]
	v_add_f64 v[79:80], v[87:88], v[79:80]
	v_fma_f64 v[95:96], v[12:13], s[10:11], v[105:106]
	v_fma_f64 v[109:110], v[22:23], s[24:25], v[123:124]
	v_mul_f64 v[97:98], v[18:19], s[26:27]
	v_add_f64 v[83:84], v[91:92], v[83:84]
	v_fma_f64 v[91:92], v[28:29], s[2:3], -v[111:112]
	v_add_f64 v[81:82], v[81:82], v[77:78]
	v_mul_f64 v[99:100], v[50:51], s[30:31]
	v_mul_f64 v[117:118], v[34:35], s[28:29]
	v_add_f64 v[77:78], v[95:96], v[79:80]
	v_mul_f64 v[95:96], v[44:45], s[22:23]
	v_fma_f64 v[87:88], v[14:15], s[10:11], -v[97:98]
	v_fma_f64 v[97:98], v[14:15], s[10:11], v[97:98]
	v_add_f64 v[83:84], v[91:92], v[83:84]
	v_fma_f64 v[91:92], v[40:41], s[2:3], v[107:108]
	v_add_f64 v[81:82], v[109:110], v[81:82]
	v_fma_f64 v[109:110], v[20:21], s[24:25], -v[113:114]
	v_fma_f64 v[79:80], v[42:43], s[2:3], -v[99:100]
	;; [unrolled: 1-line block ×3, first 2 shown]
	v_add_f64 v[75:76], v[87:88], v[75:76]
	v_mul_f64 v[87:88], v[46:47], s[22:23]
	v_fma_f64 v[99:100], v[42:43], s[2:3], v[99:100]
	v_add_f64 v[91:92], v[91:92], v[101:102]
	v_fma_f64 v[101:102], v[32:33], s[10:11], v[95:96]
	v_add_f64 v[83:84], v[109:110], v[83:84]
	v_add_f64 v[111:112], v[79:80], v[119:120]
	;; [unrolled: 1-line block ×3, first 2 shown]
	v_mul_f64 v[50:51], v[50:51], s[16:17]
	v_fma_f64 v[113:114], v[36:37], s[10:11], -v[87:88]
	v_mul_f64 v[115:116], v[38:39], s[28:29]
	v_add_f64 v[99:100], v[99:100], v[121:122]
	v_add_f64 v[91:92], v[101:102], v[91:92]
	v_fma_f64 v[101:102], v[28:29], s[24:25], v[117:118]
	v_add_f64 v[81:82], v[105:106], v[83:84]
	v_mul_f64 v[83:84], v[24:25], s[16:17]
	v_fma_f64 v[105:106], v[40:41], s[2:3], -v[107:108]
	v_fma_f64 v[87:88], v[36:37], s[10:11], v[87:88]
	v_mul_f64 v[48:49], v[48:49], s[16:17]
	v_mul_f64 v[46:47], v[46:47], s[18:19]
	v_fma_f64 v[95:96], v[32:33], s[10:11], -v[95:96]
	v_add_f64 v[91:92], v[101:102], v[91:92]
	v_mul_f64 v[44:45], v[44:45], s[18:19]
	v_fma_f64 v[101:102], v[20:21], s[14:15], v[83:84]
	v_add_f64 v[93:94], v[105:106], v[93:94]
	v_fma_f64 v[105:106], v[42:43], s[14:15], -v[50:51]
	v_add_f64 v[87:88], v[87:88], v[99:100]
	v_fma_f64 v[99:100], v[26:27], s[24:25], v[115:116]
	v_mul_f64 v[38:39], v[38:39], s[26:27]
	v_fma_f64 v[42:43], v[42:43], s[14:15], v[50:51]
	v_mul_f64 v[34:35], v[34:35], s[26:27]
	v_add_f64 v[91:92], v[101:102], v[91:92]
	v_fma_f64 v[101:102], v[40:41], s[14:15], v[48:49]
	v_add_f64 v[85:86], v[105:106], v[85:86]
	v_fma_f64 v[105:106], v[36:37], s[20:21], -v[46:47]
	v_fma_f64 v[40:41], v[40:41], s[14:15], -v[48:49]
	v_add_f64 v[93:94], v[95:96], v[93:94]
	v_fma_f64 v[95:96], v[28:29], s[24:25], -v[117:118]
	v_add_f64 v[87:88], v[99:100], v[87:88]
	v_fma_f64 v[99:100], v[32:33], s[20:21], v[44:45]
	v_fma_f64 v[48:49], v[26:27], s[10:11], -v[38:39]
	v_add_f64 v[42:43], v[42:43], v[125:126]
	v_add_f64 v[85:86], v[105:106], v[85:86]
	v_fma_f64 v[36:37], v[36:37], s[20:21], v[46:47]
	v_add_f64 v[40:41], v[40:41], v[89:90]
	v_fma_f64 v[32:33], v[32:33], s[20:21], -v[44:45]
	v_add_f64 v[97:98], v[113:114], v[111:112]
	v_mul_f64 v[111:112], v[30:31], s[16:17]
	v_add_f64 v[50:51], v[95:96], v[93:94]
	v_add_f64 v[95:96], v[101:102], v[103:104]
	v_mul_f64 v[30:31], v[30:31], s[6:7]
	v_fma_f64 v[109:110], v[26:27], s[24:25], -v[115:116]
	v_add_f64 v[44:45], v[48:49], v[85:86]
	v_fma_f64 v[48:49], v[28:29], s[10:11], v[34:35]
	v_add_f64 v[36:37], v[36:37], v[42:43]
	v_fma_f64 v[26:27], v[26:27], s[10:11], v[38:39]
	v_add_f64 v[32:33], v[32:33], v[40:41]
	v_fma_f64 v[28:29], v[28:29], s[10:11], -v[34:35]
	v_fma_f64 v[46:47], v[20:21], s[14:15], -v[83:84]
	v_add_f64 v[83:84], v[99:100], v[95:96]
	v_fma_f64 v[42:43], v[22:23], s[4:5], -v[30:31]
	v_mul_f64 v[24:25], v[24:25], s[6:7]
	v_add_f64 v[97:98], v[109:110], v[97:98]
	v_fma_f64 v[107:108], v[22:23], s[14:15], -v[111:112]
	v_fma_f64 v[93:94], v[22:23], s[14:15], v[111:112]
	v_add_f64 v[26:27], v[26:27], v[36:37]
	v_fma_f64 v[22:23], v[22:23], s[4:5], v[30:31]
	v_mul_f64 v[30:31], v[18:19], s[6:7]
	v_add_f64 v[28:29], v[28:29], v[32:33]
	v_mul_f64 v[32:33], v[16:17], s[6:7]
	v_add_f64 v[40:41], v[48:49], v[83:84]
	v_add_f64 v[42:43], v[42:43], v[44:45]
	v_fma_f64 v[44:45], v[20:21], s[4:5], v[24:25]
	v_fma_f64 v[20:21], v[20:21], s[4:5], -v[24:25]
	v_mul_f64 v[18:19], v[18:19], s[30:31]
	v_mul_f64 v[16:17], v[16:17], s[30:31]
	v_add_f64 v[97:98], v[107:108], v[97:98]
	v_add_f64 v[26:27], v[22:23], v[26:27]
	v_fma_f64 v[22:23], v[14:15], s[4:5], -v[30:31]
	v_fma_f64 v[36:37], v[12:13], s[4:5], v[32:33]
	v_add_f64 v[34:35], v[46:47], v[50:51]
	v_add_f64 v[24:25], v[44:45], v[40:41]
	;; [unrolled: 1-line block ×3, first 2 shown]
	v_fma_f64 v[20:21], v[12:13], s[4:5], -v[32:33]
	v_fma_f64 v[32:33], v[14:15], s[2:3], -v[18:19]
	v_fma_f64 v[40:41], v[12:13], s[2:3], v[16:17]
	v_add_f64 v[38:39], v[93:94], v[87:88]
	v_fma_f64 v[30:31], v[14:15], s[4:5], v[30:31]
	v_fma_f64 v[44:45], v[14:15], s[2:3], v[18:19]
	v_fma_f64 v[46:47], v[12:13], s[2:3], -v[16:17]
	v_add_f64 v[12:13], v[22:23], v[97:98]
	v_add_f64 v[14:15], v[36:37], v[91:92]
	;; [unrolled: 1-line block ×5, first 2 shown]
	s_movk_i32 s2, 0xc0
	v_add_f64 v[16:17], v[30:31], v[38:39]
	v_add_f64 v[24:25], v[44:45], v[26:27]
	;; [unrolled: 1-line block ×3, first 2 shown]
	v_mad_u32_u24 v28, v56, s2, v57
	s_waitcnt lgkmcnt(0)
	; wave barrier
	ds_write_b128 v28, v[4:7]
	ds_write_b128 v28, v[8:11] offset:16
	ds_write_b128 v28, v[52:55] offset:32
	;; [unrolled: 1-line block ×12, first 2 shown]
	s_waitcnt lgkmcnt(0)
	; wave barrier
	s_waitcnt lgkmcnt(0)
	ds_read_b128 v[12:15], v61
	ds_read_b128 v[8:11], v57 offset:416
	ds_read_b128 v[36:39], v57 offset:2704
	;; [unrolled: 1-line block ×11, first 2 shown]
                                        ; implicit-def: $vgpr6_vgpr7
	s_and_saveexec_b64 s[2:3], vcc
	s_cbranch_execz .LBB0_21
; %bb.20:
	ds_read_b128 v[0:3], v57 offset:2496
	ds_read_b128 v[4:7], v57 offset:5200
.LBB0_21:
	s_or_b64 exec, exec, s[2:3]
	v_add_u32_e32 v63, -13, v56
	v_cndmask_b32_e32 v88, v63, v56, vcc
	v_mov_b32_e32 v89, 0
	v_lshlrev_b64 v[63:64], 4, v[88:89]
	v_mov_b32_e32 v65, s9
	v_add_co_u32_e64 v72, s[2:3], s8, v63
	v_add_u16_e32 v63, 26, v56
	s_movk_i32 s4, 0x4f
	v_addc_co_u32_e64 v73, s[2:3], v65, v64, s[2:3]
	v_mul_lo_u16_sdwa v64, v63, s4 dst_sel:DWORD dst_unused:UNUSED_PAD src0_sel:BYTE_0 src1_sel:DWORD
	v_lshrrev_b16_e32 v89, 10, v64
	v_mul_lo_u16_e32 v64, 13, v89
	v_sub_u16_e32 v64, v63, v64
	v_mov_b32_e32 v63, 4
	v_lshlrev_b32_sdwa v90, v63, v64 dst_sel:DWORD dst_unused:UNUSED_PAD src0_sel:DWORD src1_sel:BYTE_0
	global_load_dwordx4 v[64:67], v[72:73], off
	global_load_dwordx4 v[68:71], v90, s[8:9]
	v_add_u16_e32 v72, 52, v56
	v_mul_lo_u16_sdwa v73, v72, s4 dst_sel:DWORD dst_unused:UNUSED_PAD src0_sel:BYTE_0 src1_sel:DWORD
	v_add_u16_e32 v80, 0x68, v56
	v_lshrrev_b16_e32 v91, 10, v73
	v_mul_lo_u16_sdwa v81, v80, s4 dst_sel:DWORD dst_unused:UNUSED_PAD src0_sel:BYTE_0 src1_sel:DWORD
	v_mul_lo_u16_e32 v73, 13, v91
	v_lshrrev_b16_e32 v95, 10, v81
	v_sub_u16_e32 v72, v72, v73
	v_mul_lo_u16_e32 v81, 13, v95
	v_lshlrev_b32_sdwa v92, v63, v72 dst_sel:DWORD dst_unused:UNUSED_PAD src0_sel:DWORD src1_sel:BYTE_0
	v_add_u16_e32 v72, 0x4e, v56
	v_sub_u16_e32 v80, v80, v81
	v_mul_lo_u16_sdwa v73, v72, s4 dst_sel:DWORD dst_unused:UNUSED_PAD src0_sel:BYTE_0 src1_sel:DWORD
	v_lshlrev_b32_sdwa v100, v63, v80 dst_sel:DWORD dst_unused:UNUSED_PAD src0_sel:DWORD src1_sel:BYTE_0
	v_add_u16_e32 v80, 0x82, v56
	v_lshrrev_b16_e32 v93, 10, v73
	v_mul_lo_u16_sdwa v81, v80, s4 dst_sel:DWORD dst_unused:UNUSED_PAD src0_sel:BYTE_0 src1_sel:DWORD
	v_mul_lo_u16_e32 v73, 13, v93
	v_lshrrev_b16_e32 v101, 10, v81
	v_sub_u16_e32 v72, v72, v73
	v_mul_lo_u16_e32 v81, 13, v101
	v_lshlrev_b32_sdwa v94, v63, v72 dst_sel:DWORD dst_unused:UNUSED_PAD src0_sel:DWORD src1_sel:BYTE_0
	global_load_dwordx4 v[72:75], v92, s[8:9]
	global_load_dwordx4 v[76:79], v94, s[8:9]
	v_sub_u16_e32 v84, v80, v81
	global_load_dwordx4 v[80:83], v100, s[8:9]
	v_lshlrev_b32_sdwa v102, v63, v84 dst_sel:DWORD dst_unused:UNUSED_PAD src0_sel:DWORD src1_sel:BYTE_0
	global_load_dwordx4 v[84:87], v102, s[8:9]
	v_mov_b32_e32 v96, 0x1a0
	v_cmp_lt_u32_e64 s[2:3], 12, v56
	v_cndmask_b32_e64 v96, 0, v96, s[2:3]
	s_movk_i32 s5, 0x1a0
	v_add_u32_e32 v96, 0, v96
	v_lshlrev_b32_e32 v88, 4, v88
	v_add3_u32 v103, v96, v88, v62
	v_mad_u32_u24 v88, v89, s5, 0
	v_mad_u32_u24 v89, v91, s5, 0
	v_add3_u32 v105, v88, v90, v62
	v_add3_u32 v106, v89, v92, v62
	v_mad_u32_u24 v91, v93, s5, 0
	v_add3_u32 v107, v91, v94, v62
	v_mad_u32_u24 v104, v95, s5, 0
	s_waitcnt lgkmcnt(0)
	; wave barrier
	s_waitcnt vmcnt(5) lgkmcnt(0)
	v_mul_f64 v[88:89], v[38:39], v[66:67]
	v_mul_f64 v[66:67], v[36:37], v[66:67]
	s_waitcnt vmcnt(4)
	v_mul_f64 v[90:91], v[34:35], v[70:71]
	v_mul_f64 v[70:71], v[32:33], v[70:71]
	v_fma_f64 v[36:37], v[36:37], v[64:65], -v[88:89]
	v_fma_f64 v[38:39], v[38:39], v[64:65], v[66:67]
	v_fma_f64 v[64:65], v[32:33], v[68:69], -v[90:91]
	v_fma_f64 v[66:67], v[34:35], v[68:69], v[70:71]
	v_add_f64 v[32:33], v[12:13], -v[36:37]
	v_add_f64 v[34:35], v[14:15], -v[38:39]
	v_add_f64 v[36:37], v[8:9], -v[64:65]
	v_add_f64 v[38:39], v[10:11], -v[66:67]
	s_waitcnt vmcnt(3)
	v_mul_f64 v[92:93], v[46:47], v[74:75]
	v_mul_f64 v[74:75], v[44:45], v[74:75]
	s_waitcnt vmcnt(2)
	v_mul_f64 v[94:95], v[42:43], v[78:79]
	s_waitcnt vmcnt(1)
	v_mul_f64 v[96:97], v[54:55], v[82:83]
	v_mul_f64 v[82:83], v[52:53], v[82:83]
	s_waitcnt vmcnt(0)
	v_mul_f64 v[98:99], v[50:51], v[86:87]
	v_mul_f64 v[86:87], v[48:49], v[86:87]
	;; [unrolled: 1-line block ×3, first 2 shown]
	v_fma_f64 v[44:45], v[44:45], v[72:73], -v[92:93]
	v_fma_f64 v[46:47], v[46:47], v[72:73], v[74:75]
	v_fma_f64 v[68:69], v[40:41], v[76:77], -v[94:95]
	v_fma_f64 v[52:53], v[52:53], v[80:81], -v[96:97]
	v_fma_f64 v[54:55], v[54:55], v[80:81], v[82:83]
	v_fma_f64 v[72:73], v[48:49], v[84:85], -v[98:99]
	v_fma_f64 v[74:75], v[50:51], v[84:85], v[86:87]
	v_fma_f64 v[70:71], v[42:43], v[76:77], v[78:79]
	v_add_f64 v[40:41], v[16:17], -v[44:45]
	v_add_f64 v[42:43], v[18:19], -v[46:47]
	;; [unrolled: 1-line block ×8, first 2 shown]
	v_fma_f64 v[12:13], v[12:13], 2.0, -v[32:33]
	v_fma_f64 v[14:15], v[14:15], 2.0, -v[34:35]
	;; [unrolled: 1-line block ×12, first 2 shown]
	ds_write_b128 v103, v[32:35] offset:208
	ds_write_b128 v103, v[12:15]
	ds_write_b128 v105, v[36:39] offset:208
	ds_write_b128 v105, v[8:11]
	ds_write_b128 v106, v[16:19]
	ds_write_b128 v106, v[40:43] offset:208
	ds_write_b128 v107, v[20:23]
	ds_write_b128 v107, v[44:47] offset:208
	v_add3_u32 v8, v104, v100, v62
	ds_write_b128 v8, v[24:27]
	ds_write_b128 v8, v[48:51] offset:208
	v_mad_u32_u24 v8, v101, s5, 0
	v_add3_u32 v8, v8, v102, v62
	ds_write_b128 v8, v[28:31]
	ds_write_b128 v8, v[52:55] offset:208
	s_and_saveexec_b64 s[2:3], vcc
	s_cbranch_execz .LBB0_23
; %bb.22:
	v_add_u16_e32 v8, 0x9c, v56
	v_mul_lo_u16_sdwa v9, v8, s4 dst_sel:DWORD dst_unused:UNUSED_PAD src0_sel:BYTE_0 src1_sel:DWORD
	v_lshrrev_b16_e32 v9, 10, v9
	v_mul_lo_u16_e32 v9, 13, v9
	v_sub_u16_e32 v8, v8, v9
	v_lshlrev_b32_sdwa v14, v63, v8 dst_sel:DWORD dst_unused:UNUSED_PAD src0_sel:DWORD src1_sel:BYTE_0
	global_load_dwordx4 v[8:11], v14, s[8:9]
	s_waitcnt vmcnt(0)
	v_mul_f64 v[12:13], v[4:5], v[10:11]
	v_mul_f64 v[10:11], v[6:7], v[10:11]
	v_fma_f64 v[6:7], v[6:7], v[8:9], v[12:13]
	v_fma_f64 v[4:5], v[4:5], v[8:9], -v[10:11]
	v_add3_u32 v8, 0, v14, v62
	v_add_f64 v[6:7], v[2:3], -v[6:7]
	v_add_f64 v[4:5], v[0:1], -v[4:5]
	v_fma_f64 v[2:3], v[2:3], 2.0, -v[6:7]
	v_fma_f64 v[0:1], v[0:1], 2.0, -v[4:5]
	ds_write_b128 v8, v[0:3] offset:4992
	ds_write_b128 v8, v[4:7] offset:5200
.LBB0_23:
	s_or_b64 exec, exec, s[2:3]
	v_mul_u32_u24_e32 v0, 12, v56
	v_lshlrev_b32_e32 v48, 4, v0
	s_waitcnt lgkmcnt(0)
	; wave barrier
	s_waitcnt lgkmcnt(0)
	global_load_dwordx4 v[0:3], v48, s[8:9] offset:208
	global_load_dwordx4 v[4:7], v48, s[8:9] offset:224
	;; [unrolled: 1-line block ×12, first 2 shown]
	ds_read_b128 v[48:51], v61
	ds_read_b128 v[52:55], v57 offset:416
	ds_read_b128 v[61:64], v57 offset:832
	;; [unrolled: 1-line block ×12, first 2 shown]
	s_mov_b32 s28, 0x66966769
	s_mov_b32 s10, 0x2ef20147
	;; [unrolled: 1-line block ×26, first 2 shown]
	s_waitcnt lgkmcnt(0)
	; wave barrier
	s_waitcnt vmcnt(11) lgkmcnt(0)
	v_mul_f64 v[105:106], v[54:55], v[2:3]
	v_mul_f64 v[2:3], v[52:53], v[2:3]
	s_waitcnt vmcnt(10)
	v_mul_f64 v[107:108], v[63:64], v[6:7]
	v_mul_f64 v[6:7], v[61:62], v[6:7]
	s_waitcnt vmcnt(9)
	;; [unrolled: 3-line block ×4, first 2 shown]
	v_mul_f64 v[113:114], v[75:76], v[18:19]
	v_mul_f64 v[18:19], v[73:74], v[18:19]
	v_fma_f64 v[52:53], v[52:53], v[0:1], -v[105:106]
	v_fma_f64 v[0:1], v[54:55], v[0:1], v[2:3]
	s_waitcnt vmcnt(6)
	v_mul_f64 v[2:3], v[79:80], v[22:23]
	v_mul_f64 v[22:23], v[77:78], v[22:23]
	s_waitcnt vmcnt(5)
	v_mul_f64 v[54:55], v[83:84], v[26:27]
	v_mul_f64 v[26:27], v[81:82], v[26:27]
	;; [unrolled: 3-line block ×3, first 2 shown]
	v_fma_f64 v[61:62], v[61:62], v[4:5], -v[107:108]
	v_fma_f64 v[63:64], v[63:64], v[4:5], v[6:7]
	v_fma_f64 v[67:68], v[67:68], v[8:9], v[10:11]
	v_fma_f64 v[69:70], v[69:70], v[12:13], -v[111:112]
	v_fma_f64 v[12:13], v[71:72], v[12:13], v[14:15]
	v_fma_f64 v[71:72], v[73:74], v[16:17], -v[113:114]
	;; [unrolled: 2-line block ×3, first 2 shown]
	v_fma_f64 v[6:7], v[79:80], v[20:21], v[22:23]
	v_fma_f64 v[10:11], v[83:84], v[24:25], v[26:27]
	v_fma_f64 v[18:19], v[85:86], v[28:29], -v[105:106]
	v_fma_f64 v[20:21], v[87:88], v[28:29], v[30:31]
	v_add_f64 v[26:27], v[48:49], v[52:53]
	v_add_f64 v[28:29], v[50:51], v[0:1]
	v_fma_f64 v[65:66], v[65:66], v[8:9], -v[109:110]
	s_waitcnt vmcnt(0)
	v_mul_f64 v[14:15], v[103:104], v[46:47]
	v_mul_f64 v[46:47], v[101:102], v[46:47]
	;; [unrolled: 1-line block ×5, first 2 shown]
	v_add_f64 v[26:27], v[26:27], v[61:62]
	v_add_f64 v[28:29], v[28:29], v[63:64]
	v_mul_f64 v[38:39], v[93:94], v[38:39]
	v_mul_f64 v[115:116], v[99:100], v[42:43]
	;; [unrolled: 1-line block ×3, first 2 shown]
	v_fma_f64 v[2:3], v[101:102], v[44:45], -v[14:15]
	v_fma_f64 v[14:15], v[103:104], v[44:45], v[46:47]
	v_fma_f64 v[8:9], v[81:82], v[24:25], -v[54:55]
	v_add_f64 v[26:27], v[26:27], v[65:66]
	v_add_f64 v[28:29], v[28:29], v[67:68]
	v_fma_f64 v[22:23], v[89:90], v[32:33], -v[107:108]
	v_fma_f64 v[24:25], v[91:92], v[32:33], v[34:35]
	v_fma_f64 v[30:31], v[93:94], v[36:37], -v[109:110]
	v_fma_f64 v[32:33], v[95:96], v[36:37], v[38:39]
	;; [unrolled: 2-line block ×3, first 2 shown]
	v_add_f64 v[40:41], v[0:1], v[14:15]
	v_add_f64 v[0:1], v[0:1], -v[14:15]
	v_add_f64 v[26:27], v[26:27], v[69:70]
	v_add_f64 v[28:29], v[28:29], v[12:13]
	;; [unrolled: 1-line block ×3, first 2 shown]
	v_add_f64 v[42:43], v[52:53], -v[2:3]
	v_add_f64 v[44:45], v[61:62], v[34:35]
	v_add_f64 v[52:53], v[61:62], -v[34:35]
	v_add_f64 v[46:47], v[63:64], v[36:37]
	v_mul_f64 v[61:62], v[0:1], s[14:15]
	v_mul_f64 v[73:74], v[0:1], s[22:23]
	;; [unrolled: 1-line block ×6, first 2 shown]
	v_add_f64 v[0:1], v[26:27], v[71:72]
	v_add_f64 v[26:27], v[28:29], v[16:17]
	v_add_f64 v[54:55], v[63:64], -v[36:37]
	v_mul_f64 v[63:64], v[42:43], s[14:15]
	v_mul_f64 v[75:76], v[42:43], s[22:23]
	;; [unrolled: 1-line block ×5, first 2 shown]
	v_add_f64 v[0:1], v[0:1], v[4:5]
	v_add_f64 v[26:27], v[26:27], v[6:7]
	v_mul_f64 v[42:43], v[42:43], s[24:25]
	v_fma_f64 v[93:94], v[38:39], s[8:9], -v[61:62]
	v_fma_f64 v[95:96], v[40:41], s[8:9], v[63:64]
	v_fma_f64 v[61:62], v[38:39], s[8:9], v[61:62]
	v_fma_f64 v[63:64], v[40:41], s[8:9], -v[63:64]
	v_fma_f64 v[97:98], v[38:39], s[4:5], -v[73:74]
	v_add_f64 v[0:1], v[0:1], v[8:9]
	v_add_f64 v[26:27], v[26:27], v[10:11]
	v_fma_f64 v[99:100], v[40:41], s[4:5], v[75:76]
	v_fma_f64 v[73:74], v[38:39], s[4:5], v[73:74]
	v_fma_f64 v[75:76], v[40:41], s[4:5], -v[75:76]
	v_fma_f64 v[101:102], v[38:39], s[2:3], -v[77:78]
	v_fma_f64 v[103:104], v[40:41], s[2:3], v[79:80]
	v_fma_f64 v[77:78], v[38:39], s[2:3], v[77:78]
	v_add_f64 v[0:1], v[0:1], v[18:19]
	v_add_f64 v[26:27], v[26:27], v[20:21]
	v_fma_f64 v[79:80], v[40:41], s[2:3], -v[79:80]
	v_fma_f64 v[105:106], v[38:39], s[6:7], -v[81:82]
	v_fma_f64 v[107:108], v[40:41], s[6:7], v[83:84]
	v_fma_f64 v[81:82], v[38:39], s[6:7], v[81:82]
	v_fma_f64 v[83:84], v[40:41], s[6:7], -v[83:84]
	v_fma_f64 v[109:110], v[38:39], s[16:17], -v[85:86]
	v_add_f64 v[0:1], v[0:1], v[22:23]
	v_add_f64 v[26:27], v[26:27], v[24:25]
	v_fma_f64 v[111:112], v[40:41], s[16:17], v[87:88]
	v_fma_f64 v[85:86], v[38:39], s[16:17], v[85:86]
	v_fma_f64 v[87:88], v[40:41], s[16:17], -v[87:88]
	v_fma_f64 v[113:114], v[38:39], s[20:21], -v[89:90]
	v_fma_f64 v[115:116], v[40:41], s[20:21], v[42:43]
	v_mul_f64 v[28:29], v[54:55], s[22:23]
	v_add_f64 v[0:1], v[0:1], v[30:31]
	v_add_f64 v[26:27], v[26:27], v[32:33]
	v_mul_f64 v[91:92], v[52:53], s[22:23]
	v_add_f64 v[93:94], v[48:49], v[93:94]
	v_add_f64 v[95:96], v[50:51], v[95:96]
	;; [unrolled: 1-line block ×15, first 2 shown]
	v_fma_f64 v[14:15], v[38:39], s[20:21], v[89:90]
	v_fma_f64 v[26:27], v[40:41], s[20:21], -v[42:43]
	v_add_f64 v[79:80], v[50:51], v[79:80]
	v_add_f64 v[34:35], v[48:49], v[105:106]
	;; [unrolled: 1-line block ×13, first 2 shown]
	v_mul_f64 v[48:49], v[54:55], s[10:11]
	v_mul_f64 v[50:51], v[52:53], s[10:11]
	v_fma_f64 v[42:43], v[44:45], s[4:5], -v[28:29]
	v_fma_f64 v[85:86], v[46:47], s[4:5], v[91:92]
	v_fma_f64 v[28:29], v[44:45], s[4:5], v[28:29]
	v_fma_f64 v[91:92], v[46:47], s[4:5], -v[91:92]
	s_mov_b32 s15, 0x3fddbe06
	v_fma_f64 v[109:110], v[44:45], s[6:7], -v[48:49]
	v_fma_f64 v[111:112], v[46:47], s[6:7], v[50:51]
	v_add_f64 v[42:43], v[42:43], v[93:94]
	v_add_f64 v[85:86], v[85:86], v[95:96]
	v_mul_f64 v[93:94], v[54:55], s[24:25]
	v_mul_f64 v[95:96], v[52:53], s[24:25]
	v_add_f64 v[28:29], v[28:29], v[61:62]
	v_add_f64 v[61:62], v[91:92], v[63:64]
	;; [unrolled: 1-line block ×4, first 2 shown]
	v_mul_f64 v[97:98], v[54:55], s[30:31]
	v_mul_f64 v[99:100], v[52:53], s[30:31]
	v_fma_f64 v[48:49], v[44:45], s[6:7], v[48:49]
	v_fma_f64 v[50:51], v[46:47], s[6:7], -v[50:51]
	v_fma_f64 v[113:114], v[44:45], s[20:21], -v[93:94]
	v_fma_f64 v[115:116], v[46:47], s[20:21], v[95:96]
	v_fma_f64 v[93:94], v[44:45], s[20:21], v[93:94]
	v_fma_f64 v[95:96], v[46:47], s[20:21], -v[95:96]
	v_fma_f64 v[109:110], v[44:45], s[16:17], -v[97:98]
	v_fma_f64 v[111:112], v[46:47], s[16:17], v[99:100]
	v_fma_f64 v[97:98], v[44:45], s[16:17], v[97:98]
	v_fma_f64 v[99:100], v[46:47], s[16:17], -v[99:100]
	v_add_f64 v[48:49], v[48:49], v[73:74]
	v_add_f64 v[50:51], v[50:51], v[75:76]
	;; [unrolled: 1-line block ×4, first 2 shown]
	v_mul_f64 v[101:102], v[54:55], s[26:27]
	v_mul_f64 v[103:104], v[52:53], s[26:27]
	v_add_f64 v[81:82], v[97:98], v[81:82]
	v_add_f64 v[83:84], v[99:100], v[83:84]
	v_add_f64 v[97:98], v[67:68], -v[32:33]
	v_add_f64 v[99:100], v[65:66], -v[30:31]
	v_add_f64 v[77:78], v[93:94], v[77:78]
	v_mul_f64 v[54:55], v[54:55], s[14:15]
	v_fma_f64 v[113:114], v[44:45], s[2:3], -v[101:102]
	v_fma_f64 v[93:94], v[46:47], s[2:3], v[103:104]
	v_mul_f64 v[52:53], v[52:53], s[14:15]
	v_add_f64 v[30:31], v[65:66], v[30:31]
	v_add_f64 v[32:33], v[67:68], v[32:33]
	v_mul_f64 v[65:66], v[97:98], s[28:29]
	v_mul_f64 v[67:68], v[99:100], s[28:29]
	v_add_f64 v[79:80], v[95:96], v[79:80]
	v_add_f64 v[95:96], v[113:114], v[105:106]
	;; [unrolled: 1-line block ×3, first 2 shown]
	v_fma_f64 v[101:102], v[44:45], s[2:3], v[101:102]
	v_fma_f64 v[103:104], v[46:47], s[2:3], -v[103:104]
	v_fma_f64 v[105:106], v[44:45], s[8:9], -v[54:55]
	v_fma_f64 v[107:108], v[46:47], s[8:9], v[52:53]
	v_fma_f64 v[44:45], v[44:45], s[8:9], v[54:55]
	v_fma_f64 v[46:47], v[46:47], s[8:9], -v[52:53]
	v_fma_f64 v[52:53], v[30:31], s[2:3], -v[65:66]
	v_fma_f64 v[54:55], v[32:33], s[2:3], v[67:68]
	v_add_f64 v[38:39], v[101:102], v[38:39]
	v_add_f64 v[40:41], v[103:104], v[40:41]
	;; [unrolled: 1-line block ×8, first 2 shown]
	v_mul_f64 v[46:47], v[97:98], s[24:25]
	v_mul_f64 v[52:53], v[99:100], s[24:25]
	v_fma_f64 v[54:55], v[30:31], s[2:3], v[65:66]
	v_fma_f64 v[65:66], v[32:33], s[2:3], -v[67:68]
	v_mul_f64 v[67:68], v[97:98], s[34:35]
	v_mul_f64 v[85:86], v[99:100], s[34:35]
	v_add_f64 v[34:35], v[109:110], v[34:35]
	v_add_f64 v[36:37], v[111:112], v[36:37]
	v_fma_f64 v[101:102], v[30:31], s[20:21], -v[46:47]
	v_fma_f64 v[103:104], v[32:33], s[20:21], v[52:53]
	v_fma_f64 v[46:47], v[30:31], s[20:21], v[46:47]
	v_fma_f64 v[52:53], v[32:33], s[20:21], -v[52:53]
	v_add_f64 v[28:29], v[54:55], v[28:29]
	v_add_f64 v[54:55], v[65:66], v[61:62]
	v_fma_f64 v[61:62], v[30:31], s[6:7], -v[67:68]
	v_fma_f64 v[65:66], v[32:33], s[6:7], v[85:86]
	v_fma_f64 v[67:68], v[30:31], s[6:7], v[67:68]
	v_add_f64 v[63:64], v[101:102], v[63:64]
	v_add_f64 v[46:47], v[46:47], v[48:49]
	;; [unrolled: 1-line block ×3, first 2 shown]
	v_mul_f64 v[50:51], v[97:98], s[14:15]
	v_mul_f64 v[52:53], v[99:100], s[14:15]
	v_add_f64 v[61:62], v[61:62], v[73:74]
	v_add_f64 v[65:66], v[65:66], v[75:76]
	v_fma_f64 v[73:74], v[32:33], s[6:7], -v[85:86]
	v_mul_f64 v[75:76], v[97:98], s[22:23]
	v_mul_f64 v[85:86], v[99:100], s[22:23]
	v_add_f64 v[91:92], v[103:104], v[91:92]
	v_fma_f64 v[101:102], v[30:31], s[8:9], -v[50:51]
	v_fma_f64 v[103:104], v[32:33], s[8:9], v[52:53]
	v_fma_f64 v[50:51], v[30:31], s[8:9], v[50:51]
	v_fma_f64 v[52:53], v[32:33], s[8:9], -v[52:53]
	v_add_f64 v[67:68], v[67:68], v[77:78]
	v_add_f64 v[73:74], v[73:74], v[79:80]
	v_fma_f64 v[77:78], v[30:31], s[4:5], -v[75:76]
	v_fma_f64 v[79:80], v[32:33], s[4:5], v[85:86]
	v_fma_f64 v[75:76], v[30:31], s[4:5], v[75:76]
	v_fma_f64 v[85:86], v[32:33], s[4:5], -v[85:86]
	v_add_f64 v[50:51], v[50:51], v[81:82]
	v_add_f64 v[52:53], v[52:53], v[83:84]
	v_mul_f64 v[81:82], v[97:98], s[18:19]
	v_mul_f64 v[83:84], v[99:100], s[18:19]
	v_add_f64 v[77:78], v[77:78], v[95:96]
	v_add_f64 v[79:80], v[79:80], v[93:94]
	v_add_f64 v[93:94], v[12:13], -v[24:25]
	v_add_f64 v[95:96], v[69:70], -v[22:23]
	v_add_f64 v[22:23], v[69:70], v[22:23]
	v_add_f64 v[12:13], v[12:13], v[24:25]
	v_fma_f64 v[97:98], v[30:31], s[16:17], -v[81:82]
	v_fma_f64 v[99:100], v[32:33], s[16:17], v[83:84]
	v_fma_f64 v[30:31], v[30:31], s[16:17], v[81:82]
	v_fma_f64 v[32:33], v[32:33], s[16:17], -v[83:84]
	v_mul_f64 v[24:25], v[93:94], s[10:11]
	v_mul_f64 v[69:70], v[95:96], s[10:11]
	v_add_f64 v[40:41], v[85:86], v[40:41]
	v_add_f64 v[38:39], v[75:76], v[38:39]
	;; [unrolled: 1-line block ×6, first 2 shown]
	v_fma_f64 v[83:84], v[22:23], s[6:7], -v[24:25]
	v_fma_f64 v[85:86], v[12:13], s[6:7], v[69:70]
	v_mul_f64 v[30:31], v[93:94], s[30:31]
	v_mul_f64 v[32:33], v[95:96], s[30:31]
	v_fma_f64 v[24:25], v[22:23], s[6:7], v[24:25]
	v_fma_f64 v[69:70], v[12:13], s[6:7], -v[69:70]
	s_mov_b32 s31, 0x3fcea1e5
	s_mov_b32 s30, s24
	v_add_f64 v[42:43], v[83:84], v[42:43]
	v_add_f64 v[44:45], v[85:86], v[44:45]
	v_mul_f64 v[83:84], v[93:94], s[14:15]
	v_mul_f64 v[85:86], v[95:96], s[14:15]
	v_fma_f64 v[87:88], v[22:23], s[16:17], -v[30:31]
	v_fma_f64 v[89:90], v[12:13], s[16:17], v[32:33]
	v_add_f64 v[24:25], v[24:25], v[28:29]
	v_add_f64 v[28:29], v[69:70], v[54:55]
	v_fma_f64 v[30:31], v[22:23], s[16:17], v[30:31]
	v_fma_f64 v[32:33], v[12:13], s[16:17], -v[32:33]
	v_fma_f64 v[54:55], v[22:23], s[8:9], -v[83:84]
	v_fma_f64 v[69:70], v[12:13], s[8:9], v[85:86]
	v_add_f64 v[63:64], v[87:88], v[63:64]
	v_add_f64 v[87:88], v[89:90], v[91:92]
	v_mul_f64 v[89:90], v[93:94], s[28:29]
	v_add_f64 v[34:35], v[101:102], v[34:35]
	v_mul_f64 v[91:92], v[95:96], s[28:29]
	v_add_f64 v[30:31], v[30:31], v[46:47]
	v_add_f64 v[32:33], v[32:33], v[48:49]
	;; [unrolled: 1-line block ×4, first 2 shown]
	v_fma_f64 v[54:55], v[22:23], s[8:9], v[83:84]
	v_fma_f64 v[65:66], v[22:23], s[2:3], -v[89:90]
	v_mul_f64 v[83:84], v[93:94], s[30:31]
	v_fma_f64 v[61:62], v[12:13], s[8:9], -v[85:86]
	v_mul_f64 v[85:86], v[95:96], s[30:31]
	v_add_f64 v[36:37], v[103:104], v[36:37]
	v_fma_f64 v[69:70], v[12:13], s[2:3], v[91:92]
	s_mov_b32 s29, 0x3fea55e2
	v_add_f64 v[54:55], v[54:55], v[67:68]
	v_add_f64 v[34:35], v[65:66], v[34:35]
	v_fma_f64 v[65:66], v[22:23], s[20:21], -v[83:84]
	s_mov_b32 s28, s22
	v_fma_f64 v[67:68], v[12:13], s[20:21], v[85:86]
	v_fma_f64 v[89:90], v[22:23], s[2:3], v[89:90]
	v_add_f64 v[36:37], v[69:70], v[36:37]
	v_mul_f64 v[69:70], v[93:94], s[28:29]
	v_fma_f64 v[91:92], v[12:13], s[2:3], -v[91:92]
	v_add_f64 v[61:62], v[61:62], v[73:74]
	v_add_f64 v[65:66], v[65:66], v[77:78]
	v_add_f64 v[77:78], v[16:17], -v[20:21]
	v_mul_f64 v[73:74], v[95:96], s[28:29]
	v_add_f64 v[67:68], v[67:68], v[79:80]
	v_add_f64 v[79:80], v[71:72], -v[18:19]
	v_add_f64 v[50:51], v[89:90], v[50:51]
	v_fma_f64 v[89:90], v[22:23], s[4:5], -v[69:70]
	v_add_f64 v[18:19], v[71:72], v[18:19]
	v_add_f64 v[16:17], v[16:17], v[20:21]
	v_mul_f64 v[20:21], v[77:78], s[18:19]
	v_add_f64 v[52:53], v[91:92], v[52:53]
	v_fma_f64 v[83:84], v[22:23], s[20:21], v[83:84]
	v_fma_f64 v[85:86], v[12:13], s[20:21], -v[85:86]
	v_fma_f64 v[91:92], v[12:13], s[4:5], v[73:74]
	v_mul_f64 v[71:72], v[79:80], s[18:19]
	v_fma_f64 v[22:23], v[22:23], s[4:5], v[69:70]
	v_fma_f64 v[12:13], v[12:13], s[4:5], -v[73:74]
	v_add_f64 v[69:70], v[89:90], v[75:76]
	v_fma_f64 v[75:76], v[18:19], s[16:17], -v[20:21]
	v_fma_f64 v[20:21], v[18:19], s[16:17], v[20:21]
	v_add_f64 v[38:39], v[83:84], v[38:39]
	v_add_f64 v[73:74], v[91:92], v[81:82]
	v_fma_f64 v[81:82], v[16:17], s[16:17], v[71:72]
	v_add_f64 v[14:15], v[22:23], v[14:15]
	v_add_f64 v[12:13], v[12:13], v[26:27]
	v_mul_f64 v[22:23], v[77:78], s[26:27]
	v_mul_f64 v[26:27], v[79:80], s[26:27]
	v_fma_f64 v[71:72], v[16:17], s[16:17], -v[71:72]
	v_add_f64 v[42:43], v[75:76], v[42:43]
	v_mul_f64 v[75:76], v[77:78], s[22:23]
	v_add_f64 v[40:41], v[85:86], v[40:41]
	v_add_f64 v[44:45], v[81:82], v[44:45]
	v_mul_f64 v[81:82], v[79:80], s[22:23]
	v_fma_f64 v[83:84], v[18:19], s[2:3], -v[22:23]
	v_fma_f64 v[85:86], v[16:17], s[2:3], v[26:27]
	v_add_f64 v[20:21], v[20:21], v[24:25]
	v_add_f64 v[24:25], v[71:72], v[28:29]
	v_fma_f64 v[26:27], v[16:17], s[2:3], -v[26:27]
	v_fma_f64 v[28:29], v[18:19], s[4:5], -v[75:76]
	v_fma_f64 v[22:23], v[18:19], s[2:3], v[22:23]
	v_fma_f64 v[71:72], v[16:17], s[4:5], v[81:82]
	v_add_f64 v[63:64], v[83:84], v[63:64]
	v_add_f64 v[83:84], v[85:86], v[87:88]
	v_mul_f64 v[85:86], v[77:78], s[30:31]
	v_mul_f64 v[87:88], v[79:80], s[30:31]
	v_add_f64 v[26:27], v[26:27], v[32:33]
	v_add_f64 v[28:29], v[28:29], v[46:47]
	v_fma_f64 v[32:33], v[18:19], s[4:5], v[75:76]
	v_fma_f64 v[46:47], v[16:17], s[4:5], -v[81:82]
	v_mul_f64 v[81:82], v[79:80], s[14:15]
	v_add_f64 v[22:23], v[22:23], v[30:31]
	v_add_f64 v[30:31], v[71:72], v[48:49]
	v_fma_f64 v[48:49], v[18:19], s[20:21], -v[85:86]
	v_mul_f64 v[75:76], v[77:78], s[14:15]
	v_fma_f64 v[71:72], v[16:17], s[20:21], v[87:88]
	v_add_f64 v[32:33], v[32:33], v[54:55]
	v_add_f64 v[46:47], v[46:47], v[61:62]
	v_fma_f64 v[54:55], v[16:17], s[8:9], v[81:82]
	v_fma_f64 v[87:88], v[16:17], s[20:21], -v[87:88]
	v_fma_f64 v[85:86], v[18:19], s[20:21], v[85:86]
	v_add_f64 v[34:35], v[48:49], v[34:35]
	v_fma_f64 v[48:49], v[18:19], s[8:9], -v[75:76]
	v_add_f64 v[36:37], v[71:72], v[36:37]
	v_fma_f64 v[61:62], v[18:19], s[8:9], v[75:76]
	v_fma_f64 v[71:72], v[16:17], s[8:9], -v[81:82]
	v_mul_f64 v[75:76], v[77:78], s[10:11]
	v_mul_f64 v[77:78], v[79:80], s[10:11]
	v_add_f64 v[54:55], v[54:55], v[67:68]
	v_add_f64 v[67:68], v[4:5], -v[8:9]
	v_add_f64 v[48:49], v[48:49], v[65:66]
	v_add_f64 v[65:66], v[6:7], -v[10:11]
	v_add_f64 v[81:82], v[6:7], v[10:11]
	v_add_f64 v[71:72], v[71:72], v[40:41]
	;; [unrolled: 1-line block ×3, first 2 shown]
	v_fma_f64 v[40:41], v[16:17], s[6:7], v[77:78]
	v_fma_f64 v[38:39], v[18:19], s[6:7], -v[75:76]
	v_mul_f64 v[6:7], v[67:68], s[24:25]
	v_add_f64 v[79:80], v[4:5], v[8:9]
	v_mul_f64 v[4:5], v[65:66], s[24:25]
	v_fma_f64 v[10:11], v[16:17], s[6:7], -v[77:78]
	v_fma_f64 v[8:9], v[18:19], s[6:7], v[75:76]
	v_mul_f64 v[16:17], v[65:66], s[14:15]
	v_add_f64 v[73:74], v[40:41], v[73:74]
	v_add_f64 v[69:70], v[38:39], v[69:70]
	v_fma_f64 v[40:41], v[81:82], s[20:21], v[6:7]
	v_mul_f64 v[18:19], v[67:68], s[14:15]
	v_fma_f64 v[38:39], v[79:80], s[20:21], -v[4:5]
	v_add_f64 v[77:78], v[10:11], v[12:13]
	v_fma_f64 v[10:11], v[81:82], s[20:21], -v[6:7]
	v_add_f64 v[75:76], v[8:9], v[14:15]
	v_fma_f64 v[8:9], v[79:80], s[20:21], v[4:5]
	v_fma_f64 v[12:13], v[79:80], s[8:9], -v[16:17]
	v_add_f64 v[6:7], v[40:41], v[44:45]
	v_mul_f64 v[40:41], v[67:68], s[18:19]
	v_add_f64 v[4:5], v[38:39], v[42:43]
	v_mul_f64 v[38:39], v[65:66], s[18:19]
	v_add_f64 v[10:11], v[10:11], v[24:25]
	v_fma_f64 v[16:17], v[79:80], s[8:9], v[16:17]
	v_mul_f64 v[44:45], v[67:68], s[28:29]
	v_fma_f64 v[14:15], v[81:82], s[8:9], v[18:19]
	v_add_f64 v[8:9], v[8:9], v[20:21]
	v_fma_f64 v[24:25], v[81:82], s[16:17], v[40:41]
	v_fma_f64 v[18:19], v[81:82], s[8:9], -v[18:19]
	v_fma_f64 v[20:21], v[79:80], s[16:17], -v[38:39]
	v_mul_f64 v[42:43], v[65:66], s[28:29]
	v_fma_f64 v[38:39], v[79:80], s[16:17], v[38:39]
	v_fma_f64 v[40:41], v[81:82], s[16:17], -v[40:41]
	v_add_f64 v[16:17], v[16:17], v[22:23]
	v_add_f64 v[52:53], v[87:88], v[52:53]
	;; [unrolled: 1-line block ×3, first 2 shown]
	v_fma_f64 v[30:31], v[81:82], s[4:5], v[44:45]
	v_add_f64 v[18:19], v[18:19], v[26:27]
	v_add_f64 v[20:21], v[20:21], v[28:29]
	v_fma_f64 v[28:29], v[79:80], s[4:5], -v[42:43]
	v_add_f64 v[24:25], v[38:39], v[32:33]
	v_add_f64 v[26:27], v[40:41], v[46:47]
	v_fma_f64 v[32:33], v[79:80], s[4:5], v[42:43]
	v_fma_f64 v[38:39], v[81:82], s[4:5], -v[44:45]
	v_mul_f64 v[40:41], v[65:66], s[10:11]
	v_mul_f64 v[42:43], v[67:68], s[10:11]
	v_add_f64 v[50:51], v[85:86], v[50:51]
	v_add_f64 v[30:31], v[30:31], v[36:37]
	v_mul_f64 v[36:37], v[65:66], s[26:27]
	v_mul_f64 v[44:45], v[67:68], s[26:27]
	v_add_f64 v[28:29], v[28:29], v[34:35]
	v_add_f64 v[34:35], v[38:39], v[52:53]
	v_fma_f64 v[38:39], v[79:80], s[6:7], -v[40:41]
	v_fma_f64 v[46:47], v[81:82], s[6:7], v[42:43]
	v_add_f64 v[32:33], v[32:33], v[50:51]
	v_add_f64 v[12:13], v[12:13], v[63:64]
	v_fma_f64 v[50:51], v[79:80], s[2:3], -v[36:37]
	v_fma_f64 v[52:53], v[81:82], s[2:3], v[44:45]
	v_fma_f64 v[63:64], v[79:80], s[2:3], v[36:37]
	v_fma_f64 v[65:66], v[81:82], s[2:3], -v[44:45]
	v_fma_f64 v[40:41], v[79:80], s[6:7], v[40:41]
	v_fma_f64 v[42:43], v[81:82], s[6:7], -v[42:43]
	v_add_f64 v[14:15], v[14:15], v[83:84]
	v_add_f64 v[36:37], v[38:39], v[48:49]
	;; [unrolled: 1-line block ×9, first 2 shown]
	ds_write_b128 v57, v[0:3]
	ds_write_b128 v57, v[4:7] offset:416
	ds_write_b128 v57, v[12:15] offset:832
	;; [unrolled: 1-line block ×12, first 2 shown]
	s_waitcnt lgkmcnt(0)
	; wave barrier
	s_waitcnt lgkmcnt(0)
	s_and_saveexec_b64 s[2:3], s[0:1]
	s_cbranch_execz .LBB0_25
; %bb.24:
	v_lshl_add_u32 v10, v56, 4, v60
	v_mov_b32_e32 v57, 0
	ds_read_b128 v[0:3], v10
	v_mov_b32_e32 v4, s13
	v_add_co_u32_e32 v11, vcc, s12, v58
	v_addc_co_u32_e32 v12, vcc, v4, v59, vcc
	v_lshlrev_b64 v[4:5], 4, v[56:57]
	v_add_co_u32_e32 v8, vcc, v11, v4
	v_addc_co_u32_e32 v9, vcc, v12, v5, vcc
	ds_read_b128 v[4:7], v10 offset:416
	s_waitcnt lgkmcnt(1)
	global_store_dwordx4 v[8:9], v[0:3], off
	s_nop 0
	v_add_u32_e32 v0, 26, v56
	v_mov_b32_e32 v1, v57
	v_lshlrev_b64 v[0:1], 4, v[0:1]
	v_add_co_u32_e32 v0, vcc, v11, v0
	v_addc_co_u32_e32 v1, vcc, v12, v1, vcc
	s_waitcnt lgkmcnt(0)
	global_store_dwordx4 v[0:1], v[4:7], off
	ds_read_b128 v[0:3], v10 offset:832
	v_add_u32_e32 v4, 52, v56
	v_mov_b32_e32 v5, v57
	v_lshlrev_b64 v[4:5], 4, v[4:5]
	v_add_co_u32_e32 v8, vcc, v11, v4
	v_addc_co_u32_e32 v9, vcc, v12, v5, vcc
	ds_read_b128 v[4:7], v10 offset:1248
	s_waitcnt lgkmcnt(1)
	global_store_dwordx4 v[8:9], v[0:3], off
	s_nop 0
	v_add_u32_e32 v0, 0x4e, v56
	v_mov_b32_e32 v1, v57
	v_lshlrev_b64 v[0:1], 4, v[0:1]
	v_add_co_u32_e32 v0, vcc, v11, v0
	v_addc_co_u32_e32 v1, vcc, v12, v1, vcc
	s_waitcnt lgkmcnt(0)
	global_store_dwordx4 v[0:1], v[4:7], off
	ds_read_b128 v[0:3], v10 offset:1664
	v_add_u32_e32 v4, 0x68, v56
	v_mov_b32_e32 v5, v57
	;; [unrolled: 17-line block ×5, first 2 shown]
	v_lshlrev_b64 v[4:5], 4, v[4:5]
	v_add_co_u32_e32 v8, vcc, v11, v4
	v_addc_co_u32_e32 v9, vcc, v12, v5, vcc
	ds_read_b128 v[4:7], v10 offset:4576
	s_waitcnt lgkmcnt(1)
	global_store_dwordx4 v[8:9], v[0:3], off
	s_nop 0
	v_add_u32_e32 v0, 0x11e, v56
	v_mov_b32_e32 v1, v57
	v_lshlrev_b64 v[0:1], 4, v[0:1]
	v_add_u32_e32 v56, 0x138, v56
	v_add_co_u32_e32 v0, vcc, v11, v0
	v_addc_co_u32_e32 v1, vcc, v12, v1, vcc
	s_waitcnt lgkmcnt(0)
	global_store_dwordx4 v[0:1], v[4:7], off
	ds_read_b128 v[0:3], v10 offset:4992
	v_lshlrev_b64 v[4:5], 4, v[56:57]
	v_add_co_u32_e32 v4, vcc, v11, v4
	v_addc_co_u32_e32 v5, vcc, v12, v5, vcc
	s_waitcnt lgkmcnt(0)
	global_store_dwordx4 v[4:5], v[0:3], off
.LBB0_25:
	s_endpgm
	.section	.rodata,"a",@progbits
	.p2align	6, 0x0
	.amdhsa_kernel fft_rtc_fwd_len338_factors_13_2_13_wgs_52_tpt_26_halfLds_dp_ip_CI_unitstride_sbrr_C2R_dirReg
		.amdhsa_group_segment_fixed_size 0
		.amdhsa_private_segment_fixed_size 0
		.amdhsa_kernarg_size 88
		.amdhsa_user_sgpr_count 6
		.amdhsa_user_sgpr_private_segment_buffer 1
		.amdhsa_user_sgpr_dispatch_ptr 0
		.amdhsa_user_sgpr_queue_ptr 0
		.amdhsa_user_sgpr_kernarg_segment_ptr 1
		.amdhsa_user_sgpr_dispatch_id 0
		.amdhsa_user_sgpr_flat_scratch_init 0
		.amdhsa_user_sgpr_private_segment_size 0
		.amdhsa_uses_dynamic_stack 0
		.amdhsa_system_sgpr_private_segment_wavefront_offset 0
		.amdhsa_system_sgpr_workgroup_id_x 1
		.amdhsa_system_sgpr_workgroup_id_y 0
		.amdhsa_system_sgpr_workgroup_id_z 0
		.amdhsa_system_sgpr_workgroup_info 0
		.amdhsa_system_vgpr_workitem_id 0
		.amdhsa_next_free_vgpr 127
		.amdhsa_next_free_sgpr 38
		.amdhsa_reserve_vcc 1
		.amdhsa_reserve_flat_scratch 0
		.amdhsa_float_round_mode_32 0
		.amdhsa_float_round_mode_16_64 0
		.amdhsa_float_denorm_mode_32 3
		.amdhsa_float_denorm_mode_16_64 3
		.amdhsa_dx10_clamp 1
		.amdhsa_ieee_mode 1
		.amdhsa_fp16_overflow 0
		.amdhsa_exception_fp_ieee_invalid_op 0
		.amdhsa_exception_fp_denorm_src 0
		.amdhsa_exception_fp_ieee_div_zero 0
		.amdhsa_exception_fp_ieee_overflow 0
		.amdhsa_exception_fp_ieee_underflow 0
		.amdhsa_exception_fp_ieee_inexact 0
		.amdhsa_exception_int_div_zero 0
	.end_amdhsa_kernel
	.text
.Lfunc_end0:
	.size	fft_rtc_fwd_len338_factors_13_2_13_wgs_52_tpt_26_halfLds_dp_ip_CI_unitstride_sbrr_C2R_dirReg, .Lfunc_end0-fft_rtc_fwd_len338_factors_13_2_13_wgs_52_tpt_26_halfLds_dp_ip_CI_unitstride_sbrr_C2R_dirReg
                                        ; -- End function
	.section	.AMDGPU.csdata,"",@progbits
; Kernel info:
; codeLenInByte = 12620
; NumSgprs: 42
; NumVgprs: 127
; ScratchSize: 0
; MemoryBound: 0
; FloatMode: 240
; IeeeMode: 1
; LDSByteSize: 0 bytes/workgroup (compile time only)
; SGPRBlocks: 5
; VGPRBlocks: 31
; NumSGPRsForWavesPerEU: 42
; NumVGPRsForWavesPerEU: 127
; Occupancy: 2
; WaveLimiterHint : 1
; COMPUTE_PGM_RSRC2:SCRATCH_EN: 0
; COMPUTE_PGM_RSRC2:USER_SGPR: 6
; COMPUTE_PGM_RSRC2:TRAP_HANDLER: 0
; COMPUTE_PGM_RSRC2:TGID_X_EN: 1
; COMPUTE_PGM_RSRC2:TGID_Y_EN: 0
; COMPUTE_PGM_RSRC2:TGID_Z_EN: 0
; COMPUTE_PGM_RSRC2:TIDIG_COMP_CNT: 0
	.type	__hip_cuid_9543bba249539c1a,@object ; @__hip_cuid_9543bba249539c1a
	.section	.bss,"aw",@nobits
	.globl	__hip_cuid_9543bba249539c1a
__hip_cuid_9543bba249539c1a:
	.byte	0                               ; 0x0
	.size	__hip_cuid_9543bba249539c1a, 1

	.ident	"AMD clang version 19.0.0git (https://github.com/RadeonOpenCompute/llvm-project roc-6.4.0 25133 c7fe45cf4b819c5991fe208aaa96edf142730f1d)"
	.section	".note.GNU-stack","",@progbits
	.addrsig
	.addrsig_sym __hip_cuid_9543bba249539c1a
	.amdgpu_metadata
---
amdhsa.kernels:
  - .args:
      - .actual_access:  read_only
        .address_space:  global
        .offset:         0
        .size:           8
        .value_kind:     global_buffer
      - .offset:         8
        .size:           8
        .value_kind:     by_value
      - .actual_access:  read_only
        .address_space:  global
        .offset:         16
        .size:           8
        .value_kind:     global_buffer
      - .actual_access:  read_only
        .address_space:  global
        .offset:         24
        .size:           8
        .value_kind:     global_buffer
      - .offset:         32
        .size:           8
        .value_kind:     by_value
      - .actual_access:  read_only
        .address_space:  global
        .offset:         40
        .size:           8
        .value_kind:     global_buffer
      - .actual_access:  read_only
        .address_space:  global
        .offset:         48
        .size:           8
        .value_kind:     global_buffer
      - .offset:         56
        .size:           4
        .value_kind:     by_value
      - .actual_access:  read_only
        .address_space:  global
        .offset:         64
        .size:           8
        .value_kind:     global_buffer
      - .actual_access:  read_only
        .address_space:  global
        .offset:         72
        .size:           8
        .value_kind:     global_buffer
      - .address_space:  global
        .offset:         80
        .size:           8
        .value_kind:     global_buffer
    .group_segment_fixed_size: 0
    .kernarg_segment_align: 8
    .kernarg_segment_size: 88
    .language:       OpenCL C
    .language_version:
      - 2
      - 0
    .max_flat_workgroup_size: 52
    .name:           fft_rtc_fwd_len338_factors_13_2_13_wgs_52_tpt_26_halfLds_dp_ip_CI_unitstride_sbrr_C2R_dirReg
    .private_segment_fixed_size: 0
    .sgpr_count:     42
    .sgpr_spill_count: 0
    .symbol:         fft_rtc_fwd_len338_factors_13_2_13_wgs_52_tpt_26_halfLds_dp_ip_CI_unitstride_sbrr_C2R_dirReg.kd
    .uniform_work_group_size: 1
    .uses_dynamic_stack: false
    .vgpr_count:     127
    .vgpr_spill_count: 0
    .wavefront_size: 64
amdhsa.target:   amdgcn-amd-amdhsa--gfx906
amdhsa.version:
  - 1
  - 2
...

	.end_amdgpu_metadata
